;; amdgpu-corpus repo=ROCm/rocFFT kind=compiled arch=gfx1201 opt=O3
	.text
	.amdgcn_target "amdgcn-amd-amdhsa--gfx1201"
	.amdhsa_code_object_version 6
	.protected	bluestein_single_fwd_len231_dim1_sp_op_CI_CI ; -- Begin function bluestein_single_fwd_len231_dim1_sp_op_CI_CI
	.globl	bluestein_single_fwd_len231_dim1_sp_op_CI_CI
	.p2align	8
	.type	bluestein_single_fwd_len231_dim1_sp_op_CI_CI,@function
bluestein_single_fwd_len231_dim1_sp_op_CI_CI: ; @bluestein_single_fwd_len231_dim1_sp_op_CI_CI
; %bb.0:
	s_load_b128 s[8:11], s[0:1], 0x28
	v_mul_u32_u24_e32 v1, 0x7c2, v0
	s_mov_b32 s2, exec_lo
	s_delay_alu instid0(VALU_DEP_1) | instskip(NEXT) | instid1(VALU_DEP_1)
	v_lshrrev_b32_e32 v1, 16, v1
	v_mad_co_u64_u32 v[44:45], null, ttmp9, 7, v[1:2]
	v_mov_b32_e32 v45, 0
	s_wait_kmcnt 0x0
	s_delay_alu instid0(VALU_DEP_1)
	v_cmpx_gt_u64_e64 s[8:9], v[44:45]
	s_cbranch_execz .LBB0_23
; %bb.1:
	v_mul_hi_u32 v2, 0x24924925, v44
	v_mul_lo_u16 v1, v1, 33
	s_clause 0x1
	s_load_b64 s[12:13], s[0:1], 0x0
	s_load_b64 s[8:9], s[0:1], 0x38
	s_delay_alu instid0(VALU_DEP_1) | instskip(NEXT) | instid1(VALU_DEP_3)
	v_sub_nc_u16 v0, v0, v1
	v_sub_nc_u32_e32 v3, v44, v2
	s_delay_alu instid0(VALU_DEP_2) | instskip(SKIP_1) | instid1(VALU_DEP_3)
	v_and_b32_e32 v51, 0xffff, v0
	v_cmp_gt_u16_e32 vcc_lo, 21, v0
	v_lshrrev_b32_e32 v3, 1, v3
	s_delay_alu instid0(VALU_DEP_3) | instskip(NEXT) | instid1(VALU_DEP_2)
	v_lshlrev_b32_e32 v52, 3, v51
	v_add_nc_u32_e32 v2, v3, v2
	s_delay_alu instid0(VALU_DEP_1) | instskip(NEXT) | instid1(VALU_DEP_1)
	v_lshrrev_b32_e32 v2, 2, v2
	v_mul_lo_u32 v2, v2, 7
	s_delay_alu instid0(VALU_DEP_1) | instskip(NEXT) | instid1(VALU_DEP_1)
	v_sub_nc_u32_e32 v1, v44, v2
	v_mul_u32_u24_e32 v53, 0xe7, v1
	s_delay_alu instid0(VALU_DEP_1)
	v_lshlrev_b32_e32 v54, 3, v53
	s_and_saveexec_b32 s3, vcc_lo
	s_cbranch_execz .LBB0_3
; %bb.2:
	s_load_b64 s[4:5], s[0:1], 0x18
	s_delay_alu instid0(VALU_DEP_1)
	v_lshl_add_u32 v47, v51, 3, v54
	v_add_nc_u32_e32 v48, v54, v52
	s_wait_kmcnt 0x0
	s_load_b128 s[4:7], s[4:5], 0x0
	s_wait_kmcnt 0x0
	v_mad_co_u64_u32 v[0:1], null, s6, v44, 0
	v_mad_co_u64_u32 v[2:3], null, s4, v51, 0
	s_delay_alu instid0(VALU_DEP_1) | instskip(NEXT) | instid1(VALU_DEP_1)
	v_mad_co_u64_u32 v[4:5], null, s7, v44, v[1:2]
	v_mad_co_u64_u32 v[5:6], null, s5, v51, v[3:4]
	v_mov_b32_e32 v1, v4
	s_mul_u64 s[4:5], s[4:5], 0xa8
	s_delay_alu instid0(VALU_DEP_1) | instskip(NEXT) | instid1(VALU_DEP_3)
	v_lshlrev_b64_e32 v[0:1], 3, v[0:1]
	v_mov_b32_e32 v3, v5
	s_delay_alu instid0(VALU_DEP_2) | instskip(NEXT) | instid1(VALU_DEP_2)
	v_add_co_u32 v10, s2, s10, v0
	v_lshlrev_b64_e32 v[2:3], 3, v[2:3]
	s_delay_alu instid0(VALU_DEP_4)
	v_add_co_ci_u32_e64 v11, s2, s11, v1, s2
	s_clause 0x8
	global_load_b64 v[0:1], v52, s[12:13]
	global_load_b64 v[4:5], v52, s[12:13] offset:168
	global_load_b64 v[6:7], v52, s[12:13] offset:336
	;; [unrolled: 1-line block ×8, first 2 shown]
	v_add_co_u32 v2, s2, v10, v2
	s_wait_alu 0xf1ff
	v_add_co_ci_u32_e64 v3, s2, v11, v3, s2
	s_wait_alu 0xfffe
	s_delay_alu instid0(VALU_DEP_2) | instskip(SKIP_1) | instid1(VALU_DEP_2)
	v_add_co_u32 v10, s2, v2, s4
	s_wait_alu 0xf1ff
	v_add_co_ci_u32_e64 v11, s2, s5, v3, s2
	global_load_b64 v[2:3], v[2:3], off
	v_add_co_u32 v20, s2, v10, s4
	s_wait_alu 0xf1ff
	v_add_co_ci_u32_e64 v21, s2, s5, v11, s2
	s_delay_alu instid0(VALU_DEP_2) | instskip(SKIP_1) | instid1(VALU_DEP_2)
	v_add_co_u32 v22, s2, v20, s4
	s_wait_alu 0xf1ff
	v_add_co_ci_u32_e64 v23, s2, s5, v21, s2
	s_delay_alu instid0(VALU_DEP_2) | instskip(SKIP_1) | instid1(VALU_DEP_2)
	v_add_co_u32 v26, s2, v22, s4
	s_wait_alu 0xf1ff
	v_add_co_ci_u32_e64 v27, s2, s5, v23, s2
	s_clause 0x2
	global_load_b64 v[10:11], v[10:11], off
	global_load_b64 v[20:21], v[20:21], off
	global_load_b64 v[22:23], v[22:23], off
	v_add_co_u32 v28, s2, v26, s4
	s_wait_alu 0xf1ff
	v_add_co_ci_u32_e64 v29, s2, s5, v27, s2
	global_load_b64 v[26:27], v[26:27], off
	v_add_co_u32 v30, s2, v28, s4
	s_wait_alu 0xf1ff
	v_add_co_ci_u32_e64 v31, s2, s5, v29, s2
	global_load_b64 v[28:29], v[28:29], off
	;; [unrolled: 4-line block ×6, first 2 shown]
	s_clause 0x1
	global_load_b64 v[40:41], v52, s[12:13] offset:1512
	global_load_b64 v[42:43], v52, s[12:13] offset:1680
	global_load_b64 v[38:39], v[38:39], off
	s_wait_loadcnt 0xc
	v_mul_f32_e32 v45, v3, v1
	v_mul_f32_e32 v1, v2, v1
	s_wait_loadcnt 0xa
	s_delay_alu instid0(VALU_DEP_2) | instskip(NEXT) | instid1(VALU_DEP_1)
	v_dual_fmac_f32 v45, v2, v0 :: v_dual_mul_f32 v2, v21, v7
	v_fmac_f32_e32 v2, v20, v6
	s_delay_alu instid0(VALU_DEP_3)
	v_fma_f32 v46, v3, v0, -v1
	v_mul_f32_e32 v0, v11, v5
	v_mul_f32_e32 v1, v10, v5
	;; [unrolled: 1-line block ×3, first 2 shown]
	s_wait_loadcnt 0x9
	v_mul_f32_e32 v5, v23, v9
	s_wait_loadcnt 0x8
	v_dual_mul_f32 v7, v27, v13 :: v_dual_fmac_f32 v0, v10, v4
	v_fma_f32 v1, v11, v4, -v1
	s_wait_loadcnt 0x7
	v_dual_mul_f32 v4, v22, v9 :: v_dual_mul_f32 v9, v29, v15
	v_fma_f32 v3, v21, v6, -v3
	v_mul_f32_e32 v10, v26, v13
	s_wait_loadcnt 0x6
	v_mul_f32_e32 v11, v31, v17
	v_fma_f32 v6, v23, v8, -v4
	v_fmac_f32_e32 v9, v28, v14
	v_dual_mul_f32 v4, v28, v15 :: v_dual_fmac_f32 v7, v26, v12
	s_delay_alu instid0(VALU_DEP_4)
	v_fmac_f32_e32 v11, v30, v16
	ds_store_b64 v47, v[45:46]
	s_wait_loadcnt 0x5
	v_mul_f32_e32 v13, v33, v19
	s_wait_loadcnt 0x4
	v_mul_f32_e32 v15, v35, v25
	s_wait_loadcnt 0x0
	s_delay_alu instid0(VALU_DEP_2)
	v_dual_fmac_f32 v13, v32, v18 :: v_dual_mul_f32 v20, v38, v43
	v_fmac_f32_e32 v5, v22, v8
	v_fma_f32 v8, v27, v12, -v10
	v_fma_f32 v10, v29, v14, -v4
	v_mul_f32_e32 v4, v30, v17
	v_dual_mul_f32 v14, v32, v19 :: v_dual_mul_f32 v17, v37, v41
	v_mul_f32_e32 v19, v39, v43
	v_fmac_f32_e32 v15, v34, v24
	s_delay_alu instid0(VALU_DEP_4)
	v_fma_f32 v12, v31, v16, -v4
	v_mul_f32_e32 v4, v34, v25
	v_fma_f32 v14, v33, v18, -v14
	v_mul_f32_e32 v18, v36, v41
	v_fmac_f32_e32 v17, v36, v40
	v_fmac_f32_e32 v19, v38, v42
	v_fma_f32 v16, v35, v24, -v4
	v_fma_f32 v20, v39, v42, -v20
	v_fma_f32 v18, v37, v40, -v18
	ds_store_2addr_b64 v48, v[0:1], v[2:3] offset0:21 offset1:42
	ds_store_2addr_b64 v48, v[5:6], v[7:8] offset0:63 offset1:84
	;; [unrolled: 1-line block ×5, first 2 shown]
.LBB0_3:
	s_or_b32 exec_lo, exec_lo, s3
	s_clause 0x1
	s_load_b64 s[4:5], s[0:1], 0x20
	s_load_b64 s[2:3], s[0:1], 0x8
	v_mov_b32_e32 v4, 0
	v_mov_b32_e32 v5, 0
	global_wb scope:SCOPE_SE
	s_wait_dscnt 0x0
	s_wait_kmcnt 0x0
	s_barrier_signal -1
	s_barrier_wait -1
	global_inv scope:SCOPE_SE
                                        ; implicit-def: $vgpr12
                                        ; implicit-def: $vgpr8
                                        ; implicit-def: $vgpr0
                                        ; implicit-def: $vgpr18
                                        ; implicit-def: $vgpr22
	s_and_saveexec_b32 s0, vcc_lo
	s_cbranch_execz .LBB0_5
; %bb.4:
	v_lshl_add_u32 v0, v53, 3, v52
	ds_load_2addr_b64 v[4:7], v0 offset1:21
	ds_load_2addr_b64 v[20:23], v0 offset0:42 offset1:63
	ds_load_2addr_b64 v[16:19], v0 offset0:84 offset1:105
	;; [unrolled: 1-line block ×4, first 2 shown]
	ds_load_b64 v[0:1], v0 offset:1680
.LBB0_5:
	s_wait_alu 0xfffe
	s_or_b32 exec_lo, exec_lo, s0
	s_wait_dscnt 0x0
	v_dual_sub_f32 v70, v7, v1 :: v_dual_sub_f32 v73, v6, v0
	v_dual_add_f32 v24, v0, v6 :: v_dual_add_f32 v25, v1, v7
	v_sub_f32_e32 v84, v23, v9
	s_delay_alu instid0(VALU_DEP_3) | instskip(SKIP_2) | instid1(VALU_DEP_3)
	v_dual_mul_f32 v28, 0xbf0a6770, v70 :: v_dual_mul_f32 v31, 0xbf0a6770, v73
	v_dual_mul_f32 v58, 0xbf7d64f0, v73 :: v_dual_sub_f32 v79, v20, v10
	v_mul_f32_e32 v42, 0xbf7d64f0, v70
	v_dual_fmamk_f32 v2, v24, 0x3f575c64, v28 :: v_dual_sub_f32 v77, v21, v11
	s_delay_alu instid0(VALU_DEP_4) | instskip(SKIP_2) | instid1(VALU_DEP_4)
	v_fma_f32 v3, 0x3f575c64, v25, -v31
	v_mul_f32_e32 v34, 0xbf68dda4, v70
	v_dual_mul_f32 v64, 0xbf4178ce, v70 :: v_dual_mul_f32 v57, 0xbf4178ce, v79
	v_mul_f32_e32 v32, 0xbf68dda4, v77
	s_delay_alu instid0(VALU_DEP_4) | instskip(SKIP_4) | instid1(VALU_DEP_4)
	v_add_f32_e32 v3, v3, v5
	v_mul_f32_e32 v68, 0xbf4178ce, v73
	v_add_f32_e32 v2, v2, v4
	v_mul_f32_e32 v50, 0xbf4178ce, v77
	v_dual_mul_f32 v60, 0x3e903f40, v77 :: v_dual_sub_f32 v85, v22, v8
	v_fma_f32 v33, 0xbf27a4f4, v25, -v68
	v_dual_fmamk_f32 v26, v24, 0x3ed4b147, v34 :: v_dual_sub_f32 v89, v17, v15
	v_dual_sub_f32 v90, v16, v14 :: v_dual_sub_f32 v93, v19, v13
	s_delay_alu instid0(VALU_DEP_3) | instskip(NEXT) | instid1(VALU_DEP_3)
	v_add_f32_e32 v41, v33, v5
	v_dual_mul_f32 v38, 0xbf68dda4, v73 :: v_dual_add_f32 v29, v26, v4
	v_fmamk_f32 v26, v24, 0xbe11bafb, v42
	s_delay_alu instid0(VALU_DEP_4) | instskip(NEXT) | instid1(VALU_DEP_3)
	v_dual_mul_f32 v56, 0xbf4178ce, v89 :: v_dual_mul_f32 v59, 0xbf4178ce, v90
	v_fma_f32 v27, 0x3ed4b147, v25, -v38
	v_mul_f32_e32 v92, 0xbe903f40, v90
	v_mul_f32_e32 v91, 0x3f68dda4, v93
	global_wb scope:SCOPE_SE
	s_barrier_signal -1
	v_add_f32_e32 v30, v27, v5
	v_fma_f32 v27, 0xbe11bafb, v25, -v58
	v_mul_f32_e32 v33, 0xbf68dda4, v79
	s_barrier_wait -1
	global_inv scope:SCOPE_SE
	v_dual_mul_f32 v67, 0x3e903f40, v79 :: v_dual_add_f32 v36, v27, v5
	v_fmamk_f32 v27, v24, 0xbf27a4f4, v64
	v_mul_f32_e32 v81, 0x3f7d64f0, v79
	v_mul_f32_e32 v62, 0x3e903f40, v85
	;; [unrolled: 1-line block ×3, first 2 shown]
	s_delay_alu instid0(VALU_DEP_4)
	v_dual_mul_f32 v71, 0x3f7d64f0, v90 :: v_dual_add_f32 v40, v27, v4
	v_add_f32_e32 v27, v11, v21
	v_add_f32_e32 v35, v26, v4
	;; [unrolled: 1-line block ×3, first 2 shown]
	v_sub_f32_e32 v94, v18, v12
	v_mul_f32_e32 v72, 0x3f0a6770, v93
	v_fma_f32 v43, 0xbf27a4f4, v27, -v57
	v_fma_f32 v48, 0xbe11bafb, v27, -v81
	v_fmamk_f32 v37, v26, 0x3ed4b147, v32
	v_fmamk_f32 v45, v26, 0xbf75a155, v60
	v_mul_f32_e32 v95, 0x3f68dda4, v94
	v_dual_add_f32 v43, v43, v30 :: v_dual_add_f32 v30, v9, v23
	s_delay_alu instid0(VALU_DEP_4) | instskip(SKIP_4) | instid1(VALU_DEP_4)
	v_add_f32_e32 v2, v37, v2
	v_fma_f32 v37, 0x3ed4b147, v27, -v33
	v_add_f32_e32 v35, v45, v35
	v_fmamk_f32 v39, v26, 0xbf27a4f4, v50
	v_fma_f32 v45, 0xbf75a155, v27, -v67
	v_dual_mul_f32 v88, 0xbe903f40, v89 :: v_dual_add_f32 v3, v37, v3
	v_mul_f32_e32 v80, 0x3f0a6770, v94
	s_delay_alu instid0(VALU_DEP_4) | instskip(SKIP_4) | instid1(VALU_DEP_3)
	v_dual_add_f32 v46, v39, v29 :: v_dual_add_f32 v29, v8, v22
	v_mul_f32_e32 v37, 0xbf7d64f0, v84
	v_dual_mul_f32 v39, 0xbf7d64f0, v85 :: v_dual_add_f32 v36, v45, v36
	v_mul_f32_e32 v61, 0x3e903f40, v84
	v_dual_add_f32 v41, v48, v41 :: v_dual_mul_f32 v66, 0x3f68dda4, v84
	v_fma_f32 v45, 0xbe11bafb, v30, -v39
	v_mul_f32_e32 v76, 0x3f7d64f0, v77
	v_fmamk_f32 v49, v29, 0xbe11bafb, v37
	v_mul_f32_e32 v82, 0xbf4178ce, v93
	v_fmamk_f32 v48, v29, 0x3ed4b147, v66
	v_add_f32_e32 v3, v45, v3
	s_delay_alu instid0(VALU_DEP_4) | instskip(NEXT) | instid1(VALU_DEP_1)
	v_dual_fmamk_f32 v47, v26, 0xbe11bafb, v76 :: v_dual_add_f32 v2, v49, v2
	v_dual_add_f32 v40, v47, v40 :: v_dual_fmamk_f32 v45, v29, 0xbf75a155, v61
	v_mul_f32_e32 v74, 0x3f68dda4, v85
	v_fma_f32 v47, 0xbf75a155, v30, -v62
	s_delay_alu instid0(VALU_DEP_3) | instskip(NEXT) | instid1(VALU_DEP_3)
	v_dual_mul_f32 v78, 0xbf0a6770, v84 :: v_dual_add_f32 v45, v45, v46
	v_fma_f32 v49, 0x3ed4b147, v30, -v74
	s_delay_alu instid0(VALU_DEP_2) | instskip(SKIP_2) | instid1(VALU_DEP_4)
	v_dual_add_f32 v43, v47, v43 :: v_dual_fmamk_f32 v46, v29, 0x3f575c64, v78
	v_add_f32_e32 v47, v48, v35
	v_add_f32_e32 v35, v14, v16
	;; [unrolled: 1-line block ×5, first 2 shown]
	v_fma_f32 v46, 0x3f575c64, v30, -v87
	v_fmamk_f32 v49, v35, 0xbf27a4f4, v56
	v_mul_f32_e32 v69, 0x3f7d64f0, v89
	v_mul_f32_e32 v83, 0xbf0a6770, v90
	s_delay_alu instid0(VALU_DEP_3) | instskip(SKIP_3) | instid1(VALU_DEP_3)
	v_add_f32_e32 v2, v49, v2
	v_fma_f32 v49, 0xbe11bafb, v36, -v71
	v_add_f32_e32 v41, v46, v41
	v_fma_f32 v46, 0xbf27a4f4, v36, -v59
	v_dual_add_f32 v96, v49, v43 :: v_dual_add_f32 v43, v12, v18
	s_delay_alu instid0(VALU_DEP_2) | instskip(SKIP_4) | instid1(VALU_DEP_4)
	v_add_f32_e32 v3, v46, v3
	v_fma_f32 v46, 0x3f575c64, v36, -v83
	v_fmamk_f32 v55, v35, 0xbe11bafb, v69
	v_add_f32_e32 v49, v13, v19
	v_fmamk_f32 v101, v43, 0x3ed4b147, v91
	v_dual_mul_f32 v63, 0xbe903f40, v93 :: v_dual_add_f32 v98, v46, v48
	v_fmamk_f32 v48, v35, 0xbf75a155, v88
	s_delay_alu instid0(VALU_DEP_1) | instskip(SKIP_1) | instid1(VALU_DEP_1)
	v_dual_add_f32 v55, v55, v45 :: v_dual_add_f32 v100, v48, v40
	v_mul_f32_e32 v65, 0xbe903f40, v94
	v_fma_f32 v46, 0xbf75a155, v49, -v65
	s_delay_alu instid0(VALU_DEP_1) | instskip(NEXT) | instid1(VALU_DEP_1)
	v_dual_mul_f32 v75, 0xbf0a6770, v89 :: v_dual_add_f32 v46, v46, v3
	v_fmamk_f32 v45, v35, 0x3f575c64, v75
	s_delay_alu instid0(VALU_DEP_1) | instskip(SKIP_1) | instid1(VALU_DEP_1)
	v_add_f32_e32 v97, v45, v47
	v_fmamk_f32 v45, v43, 0xbf75a155, v63
	v_dual_add_f32 v45, v45, v2 :: v_dual_fmamk_f32 v2, v43, 0x3f575c64, v72
	v_mul_f32_e32 v86, 0xbf4178ce, v94
	v_fma_f32 v3, 0x3f575c64, v49, -v80
	v_fma_f32 v102, 0x3ed4b147, v49, -v95
	s_delay_alu instid0(VALU_DEP_4) | instskip(SKIP_4) | instid1(VALU_DEP_4)
	v_add_f32_e32 v47, v2, v55
	v_fma_f32 v55, 0xbf75a155, v36, -v92
	v_fmamk_f32 v2, v43, 0xbf27a4f4, v82
	v_fma_f32 v99, 0xbf27a4f4, v49, -v86
	v_add_f32_e32 v48, v3, v96
	v_add_f32_e32 v55, v55, v41
	s_delay_alu instid0(VALU_DEP_3) | instskip(NEXT) | instid1(VALU_DEP_2)
	v_dual_add_f32 v40, v2, v97 :: v_dual_add_f32 v41, v99, v98
	v_dual_add_f32 v2, v101, v100 :: v_dual_add_f32 v3, v102, v55
	v_mul_lo_u16 v55, v51, 11
	s_and_saveexec_b32 s0, vcc_lo
	s_cbranch_execz .LBB0_7
; %bb.6:
	v_dual_mul_f32 v73, 0xbe903f40, v73 :: v_dual_mul_f32 v70, 0xbe903f40, v70
	v_dual_mul_f32 v102, 0xbf27a4f4, v24 :: v_dual_mul_f32 v103, 0xbf27a4f4, v25
	v_mul_f32_e32 v79, 0x3f0a6770, v79
	s_delay_alu instid0(VALU_DEP_3) | instskip(NEXT) | instid1(VALU_DEP_4)
	v_fmamk_f32 v111, v25, 0xbf75a155, v73
	v_fma_f32 v113, 0xbf75a155, v24, -v70
	v_mul_f32_e32 v112, 0xbe11bafb, v27
	v_dual_mul_f32 v115, 0xbf4178ce, v85 :: v_dual_mul_f32 v116, 0xbf4178ce, v84
	v_add_f32_e32 v68, v68, v103
	v_dual_mul_f32 v110, 0xbe11bafb, v26 :: v_dual_add_f32 v111, v111, v5
	v_dual_add_f32 v85, v113, v4 :: v_dual_fmamk_f32 v114, v27, 0x3f575c64, v79
	v_mul_f32_e32 v77, 0x3f0a6770, v77
	v_dual_mul_f32 v94, 0xbf7d64f0, v94 :: v_dual_add_f32 v81, v81, v112
	v_add_f32_e32 v68, v68, v5
	s_delay_alu instid0(VALU_DEP_4) | instskip(NEXT) | instid1(VALU_DEP_4)
	v_add_f32_e32 v84, v114, v111
	v_fma_f32 v113, 0x3f575c64, v26, -v77
	v_fmamk_f32 v111, v30, 0xbf27a4f4, v115
	s_delay_alu instid0(VALU_DEP_4) | instskip(SKIP_1) | instid1(VALU_DEP_4)
	v_dual_mul_f32 v89, 0x3f68dda4, v89 :: v_dual_add_f32 v68, v81, v68
	v_mul_f32_e32 v81, 0xbf75a155, v30
	v_add_f32_e32 v85, v113, v85
	v_fma_f32 v113, 0xbf27a4f4, v29, -v116
	v_mul_f32_e32 v90, 0x3f68dda4, v90
	v_fma_f32 v112, 0x3ed4b147, v35, -v89
	v_add_f32_e32 v84, v111, v84
	v_dual_mul_f32 v100, 0xbe11bafb, v24 :: v_dual_mul_f32 v101, 0xbe11bafb, v25
	v_add_f32_e32 v85, v113, v85
	v_mul_f32_e32 v113, 0x3f575c64, v30
	v_dual_mul_f32 v108, 0xbf75a155, v26 :: v_dual_mul_f32 v109, 0xbf75a155, v27
	v_dual_mul_f32 v98, 0x3ed4b147, v24 :: v_dual_mul_f32 v99, 0x3ed4b147, v25
	s_delay_alu instid0(VALU_DEP_4) | instskip(NEXT) | instid1(VALU_DEP_4)
	v_add_f32_e32 v112, v112, v85
	v_add_f32_e32 v87, v87, v113
	v_dual_mul_f32 v93, 0xbf7d64f0, v93 :: v_dual_sub_f32 v64, v102, v64
	v_dual_mul_f32 v104, 0x3ed4b147, v26 :: v_dual_mul_f32 v105, 0x3ed4b147, v27
	s_delay_alu instid0(VALU_DEP_3) | instskip(NEXT) | instid1(VALU_DEP_3)
	v_add_f32_e32 v68, v87, v68
	v_fma_f32 v118, 0xbe11bafb, v43, -v93
	v_fmamk_f32 v103, v36, 0x3ed4b147, v90
	v_mul_f32_e32 v111, 0xbf75a155, v29
	v_dual_mul_f32 v87, 0x3f575c64, v29 :: v_dual_add_f32 v64, v64, v4
	v_sub_f32_e32 v76, v110, v76
	s_delay_alu instid0(VALU_DEP_4) | instskip(NEXT) | instid1(VALU_DEP_3)
	v_dual_add_f32 v84, v103, v84 :: v_dual_fmamk_f32 v103, v49, 0xbe11bafb, v94
	v_sub_f32_e32 v78, v87, v78
	v_dual_mul_f32 v110, 0xbf27a4f4, v36 :: v_dual_add_f32 v67, v67, v109
	v_mul_f32_e32 v87, 0xbf75a155, v35
	s_delay_alu instid0(VALU_DEP_4)
	v_add_f32_e32 v85, v103, v84
	v_add_f32_e32 v84, v118, v112
	v_mul_f32_e32 v112, 0xbf75a155, v36
	v_mul_f32_e32 v113, 0x3ed4b147, v29
	v_dual_mul_f32 v103, 0x3ed4b147, v30 :: v_dual_add_f32 v58, v58, v101
	v_sub_f32_e32 v87, v87, v88
	s_delay_alu instid0(VALU_DEP_4) | instskip(SKIP_1) | instid1(VALU_DEP_4)
	v_add_f32_e32 v92, v92, v112
	v_dual_add_f32 v64, v76, v64 :: v_dual_mul_f32 v109, 0xbf75a155, v43
	v_add_f32_e32 v58, v58, v5
	v_dual_mul_f32 v106, 0xbf27a4f4, v26 :: v_dual_mul_f32 v107, 0xbf27a4f4, v27
	s_delay_alu instid0(VALU_DEP_4) | instskip(SKIP_1) | instid1(VALU_DEP_4)
	v_add_f32_e32 v68, v92, v68
	v_mul_f32_e32 v112, 0x3ed4b147, v49
	v_dual_add_f32 v58, v67, v58 :: v_dual_mul_f32 v67, 0x3ed4b147, v43
	v_add_f32_e32 v64, v78, v64
	v_dual_add_f32 v38, v38, v99 :: v_dual_add_f32 v33, v33, v105
	s_delay_alu instid0(VALU_DEP_4) | instskip(NEXT) | instid1(VALU_DEP_4)
	v_dual_mul_f32 v92, 0xbe11bafb, v35 :: v_dual_add_f32 v95, v95, v112
	v_dual_mul_f32 v112, 0xbe11bafb, v36 :: v_dual_sub_f32 v67, v67, v91
	v_dual_add_f32 v74, v74, v103 :: v_dual_mul_f32 v103, 0x3f575c64, v49
	v_dual_add_f32 v64, v87, v64 :: v_dual_add_f32 v57, v57, v107
	v_add_f32_e32 v38, v38, v5
	v_mul_f32_e32 v88, 0x3f575c64, v43
	v_sub_f32_e32 v34, v98, v34
	v_dual_mul_f32 v96, 0x3f575c64, v24 :: v_dual_mul_f32 v97, 0x3f575c64, v25
	s_delay_alu instid0(VALU_DEP_4) | instskip(SKIP_1) | instid1(VALU_DEP_4)
	v_dual_add_f32 v38, v57, v38 :: v_dual_add_f32 v57, v62, v81
	v_dual_mul_f32 v78, 0xbf75a155, v49 :: v_dual_add_f32 v67, v67, v64
	v_add_f32_e32 v34, v34, v4
	v_sub_f32_e32 v50, v106, v50
	s_delay_alu instid0(VALU_DEP_4) | instskip(SKIP_2) | instid1(VALU_DEP_4)
	v_dual_add_f32 v38, v57, v38 :: v_dual_add_f32 v57, v71, v112
	v_dual_mul_f32 v91, 0xbf27a4f4, v49 :: v_dual_add_f32 v58, v74, v58
	v_dual_sub_f32 v42, v100, v42 :: v_dual_add_f32 v7, v7, v5
	v_add_f32_e32 v34, v50, v34
	v_dual_sub_f32 v50, v111, v61 :: v_dual_fmac_f32 v77, 0x3f575c64, v26
	v_dual_add_f32 v38, v57, v38 :: v_dual_add_f32 v61, v80, v103
	v_add_f32_e32 v62, v31, v97
	v_dual_sub_f32 v28, v96, v28 :: v_dual_fmac_f32 v93, 0xbe11bafb, v43
	v_dual_mul_f32 v114, 0xbe11bafb, v29 :: v_dual_mul_f32 v117, 0xbe11bafb, v30
	s_delay_alu instid0(VALU_DEP_4)
	v_dual_add_f32 v68, v95, v68 :: v_dual_add_f32 v31, v61, v38
	v_sub_f32_e32 v60, v108, v60
	v_add_f32_e32 v38, v62, v5
	v_add_f32_e32 v42, v42, v4
	;; [unrolled: 1-line block ×3, first 2 shown]
	v_sub_f32_e32 v32, v104, v32
	v_dual_mul_f32 v76, 0x3f575c64, v35 :: v_dual_mul_f32 v101, 0x3f575c64, v36
	s_delay_alu instid0(VALU_DEP_4) | instskip(NEXT) | instid1(VALU_DEP_3)
	v_dual_add_f32 v42, v60, v42 :: v_dual_mul_f32 v87, 0xbf27a4f4, v43
	v_add_f32_e32 v28, v32, v28
	v_sub_f32_e32 v60, v113, v66
	v_dual_add_f32 v7, v21, v7 :: v_dual_add_f32 v6, v6, v4
	v_add_f32_e32 v21, v33, v38
	s_delay_alu instid0(VALU_DEP_3) | instskip(SKIP_1) | instid1(VALU_DEP_4)
	v_dual_add_f32 v33, v39, v117 :: v_dual_add_f32 v42, v60, v42
	v_sub_f32_e32 v60, v76, v75
	v_dual_add_f32 v7, v23, v7 :: v_dual_add_f32 v6, v20, v6
	v_add_f32_e32 v64, v86, v91
	s_delay_alu instid0(VALU_DEP_4) | instskip(NEXT) | instid1(VALU_DEP_4)
	v_dual_add_f32 v20, v33, v21 :: v_dual_add_f32 v21, v59, v110
	v_add_f32_e32 v42, v60, v42
	v_sub_f32_e32 v60, v87, v82
	v_dual_add_f32 v74, v83, v101 :: v_dual_add_f32 v7, v17, v7
	v_add_f32_e32 v6, v22, v6
	s_delay_alu instid0(VALU_DEP_3) | instskip(NEXT) | instid1(VALU_DEP_3)
	v_dual_add_f32 v20, v21, v20 :: v_dual_add_f32 v57, v60, v42
	v_dual_add_f32 v58, v74, v58 :: v_dual_add_f32 v7, v19, v7
	s_delay_alu instid0(VALU_DEP_3) | instskip(SKIP_2) | instid1(VALU_DEP_3)
	v_add_f32_e32 v6, v16, v6
	v_dual_add_f32 v19, v65, v78 :: v_dual_fmac_f32 v70, 0xbf75a155, v24
	v_mul_f32_e32 v102, 0xbf27a4f4, v35
	v_dual_add_f32 v13, v13, v7 :: v_dual_add_f32 v18, v18, v6
	s_delay_alu instid0(VALU_DEP_3) | instskip(SKIP_1) | instid1(VALU_DEP_3)
	v_add_f32_e32 v7, v19, v20
	v_fma_f32 v19, 0xbf75a155, v25, -v73
	v_dual_add_f32 v4, v70, v4 :: v_dual_add_f32 v13, v15, v13
	s_delay_alu instid0(VALU_DEP_4) | instskip(SKIP_1) | instid1(VALU_DEP_4)
	v_add_f32_e32 v12, v12, v18
	v_fma_f32 v15, 0x3f575c64, v27, -v79
	v_add_f32_e32 v5, v19, v5
	v_sub_f32_e32 v23, v114, v37
	s_delay_alu instid0(VALU_DEP_4) | instskip(SKIP_1) | instid1(VALU_DEP_4)
	v_dual_add_f32 v9, v9, v13 :: v_dual_add_f32 v12, v14, v12
	v_fma_f32 v13, 0xbf27a4f4, v30, -v115
	v_dual_add_f32 v5, v15, v5 :: v_dual_add_f32 v4, v77, v4
	v_fmac_f32_e32 v116, 0xbf27a4f4, v29
	s_delay_alu instid0(VALU_DEP_4)
	v_dual_add_f32 v34, v50, v34 :: v_dual_add_f32 v9, v11, v9
	v_add_f32_e32 v17, v23, v28
	v_sub_f32_e32 v22, v102, v56
	v_add_f32_e32 v8, v8, v12
	v_dual_sub_f32 v50, v92, v69 :: v_dual_fmac_f32 v89, 0x3ed4b147, v35
	v_add_f32_e32 v5, v13, v5
	v_fma_f32 v11, 0x3ed4b147, v36, -v90
	v_add_f32_e32 v4, v116, v4
	v_dual_add_f32 v58, v64, v58 :: v_dual_add_f32 v1, v1, v9
	v_dual_add_f32 v16, v22, v17 :: v_dual_sub_f32 v17, v109, v63
	v_dual_add_f32 v8, v10, v8 :: v_dual_and_b32 v9, 0xffff, v55
	v_dual_add_f32 v34, v50, v34 :: v_dual_add_f32 v5, v11, v5
	v_fma_f32 v10, 0xbe11bafb, v49, -v94
	v_sub_f32_e32 v42, v88, v72
	v_add_f32_e32 v4, v89, v4
	v_add_f32_e32 v6, v17, v16
	s_delay_alu instid0(VALU_DEP_4)
	v_dual_add_f32 v0, v0, v8 :: v_dual_add_f32 v5, v10, v5
	v_add_lshl_u32 v8, v53, v9, 3
	v_add_f32_e32 v30, v42, v34
	v_add_f32_e32 v4, v93, v4
	ds_store_2addr_b64 v8, v[0:1], v[6:7] offset1:1
	ds_store_2addr_b64 v8, v[30:31], v[57:58] offset0:2 offset1:3
	ds_store_2addr_b64 v8, v[67:68], v[84:85] offset0:4 offset1:5
	ds_store_2addr_b64 v8, v[4:5], v[2:3] offset0:6 offset1:7
	ds_store_2addr_b64 v8, v[40:41], v[47:48] offset0:8 offset1:9
	ds_store_b64 v8, v[45:46] offset:80
.LBB0_7:
	s_wait_alu 0xfffe
	s_or_b32 exec_lo, exec_lo, s0
	v_and_b32_e32 v0, 0xff, v51
	s_load_b128 s[4:7], s[4:5], 0x0
	global_wb scope:SCOPE_SE
	s_wait_dscnt 0x0
	s_wait_kmcnt 0x0
	s_barrier_signal -1
	s_barrier_wait -1
	v_mul_lo_u16 v0, 0x75, v0
	global_inv scope:SCOPE_SE
	v_add_lshl_u32 v57, v53, v51, 3
	v_cmp_gt_u16_e64 s0, 11, v51
	v_lshrrev_b16 v0, 8, v0
	s_delay_alu instid0(VALU_DEP_1) | instskip(NEXT) | instid1(VALU_DEP_1)
	v_sub_nc_u16 v1, v51, v0
	v_lshrrev_b16 v1, 1, v1
	s_delay_alu instid0(VALU_DEP_1) | instskip(NEXT) | instid1(VALU_DEP_1)
	v_and_b32_e32 v1, 0x7f, v1
	v_add_nc_u16 v0, v1, v0
	s_delay_alu instid0(VALU_DEP_1) | instskip(NEXT) | instid1(VALU_DEP_1)
	v_lshrrev_b16 v0, 3, v0
	v_mul_lo_u16 v1, v0, 11
	s_delay_alu instid0(VALU_DEP_1) | instskip(NEXT) | instid1(VALU_DEP_1)
	v_sub_nc_u16 v1, v51, v1
	v_and_b32_e32 v28, 0xff, v1
	s_delay_alu instid0(VALU_DEP_1) | instskip(NEXT) | instid1(VALU_DEP_1)
	v_mul_u32_u24_e32 v1, 6, v28
	v_lshlrev_b32_e32 v1, 3, v1
	s_clause 0x2
	global_load_b128 v[12:15], v1, s[2:3]
	global_load_b128 v[8:11], v1, s[2:3] offset:16
	global_load_b128 v[4:7], v1, s[2:3] offset:32
	ds_load_2addr_b64 v[16:19], v57 offset1:33
	ds_load_2addr_b64 v[20:23], v57 offset0:66 offset1:99
	ds_load_2addr_b64 v[24:27], v57 offset0:132 offset1:165
	s_wait_loadcnt_dscnt 0x201
	v_dual_mul_f32 v31, v20, v15 :: v_dual_and_b32 v0, 0xffff, v0
	s_wait_loadcnt 0x1
	v_mul_f32_e32 v33, v22, v9
	s_delay_alu instid0(VALU_DEP_2)
	v_mul_u32_u24_e32 v29, 0x4d, v0
	ds_load_b64 v[0:1], v57 offset:1584
	v_mul_f32_e32 v30, v21, v15
	v_dual_mul_f32 v32, v23, v9 :: v_dual_fmac_f32 v31, v21, v14
	s_wait_dscnt 0x1
	v_dual_mul_f32 v35, v24, v11 :: v_dual_add_nc_u32 v28, v29, v28
	v_dual_mul_f32 v29, v18, v13 :: v_dual_mul_f32 v34, v25, v11
	s_wait_loadcnt 0x0
	v_mul_f32_e32 v37, v26, v5
	s_delay_alu instid0(VALU_DEP_3)
	v_add_lshl_u32 v58, v53, v28, 3
	v_mul_f32_e32 v28, v19, v13
	global_wb scope:SCOPE_SE
	s_wait_dscnt 0x0
	v_fma_f32 v21, v24, v10, -v34
	v_fmac_f32_e32 v29, v19, v12
	v_fma_f32 v19, v20, v14, -v30
	v_fma_f32 v20, v22, v8, -v32
	s_barrier_signal -1
	s_barrier_wait -1
	global_inv scope:SCOPE_SE
	v_mul_f32_e32 v38, v1, v7
	v_dual_mul_f32 v39, v0, v7 :: v_dual_mul_f32 v36, v27, v5
	v_fma_f32 v18, v18, v12, -v28
	s_delay_alu instid0(VALU_DEP_3) | instskip(NEXT) | instid1(VALU_DEP_3)
	v_fma_f32 v0, v0, v6, -v38
	v_fmac_f32_e32 v39, v1, v6
	s_delay_alu instid0(VALU_DEP_4) | instskip(SKIP_1) | instid1(VALU_DEP_4)
	v_fma_f32 v1, v26, v4, -v36
	v_dual_fmac_f32 v35, v25, v10 :: v_dual_add_f32 v26, v20, v21
	v_add_f32_e32 v22, v18, v0
	v_fmac_f32_e32 v33, v23, v8
	v_dual_add_f32 v23, v29, v39 :: v_dual_sub_f32 v0, v18, v0
	v_sub_f32_e32 v18, v29, v39
	v_add_f32_e32 v24, v19, v1
	v_fmac_f32_e32 v37, v27, v4
	v_add_f32_e32 v27, v33, v35
	v_dual_sub_f32 v1, v19, v1 :: v_dual_sub_f32 v20, v21, v20
	s_delay_alu instid0(VALU_DEP_4) | instskip(NEXT) | instid1(VALU_DEP_4)
	v_sub_f32_e32 v30, v24, v22
	v_dual_add_f32 v28, v24, v22 :: v_dual_add_f32 v25, v31, v37
	v_dual_sub_f32 v19, v31, v37 :: v_dual_sub_f32 v22, v22, v26
	v_dual_sub_f32 v21, v35, v33 :: v_dual_sub_f32 v24, v26, v24
	s_delay_alu instid0(VALU_DEP_3)
	v_dual_add_f32 v29, v25, v23 :: v_dual_add_f32 v32, v20, v1
	v_dual_sub_f32 v31, v25, v23 :: v_dual_sub_f32 v34, v20, v1
	v_dual_sub_f32 v23, v23, v27 :: v_dual_sub_f32 v20, v0, v20
	v_dual_sub_f32 v25, v27, v25 :: v_dual_add_f32 v26, v26, v28
	v_add_f32_e32 v33, v21, v19
	v_dual_sub_f32 v35, v21, v19 :: v_dual_mul_f32 v22, 0x3f4a47b2, v22
	v_sub_f32_e32 v1, v1, v0
	s_delay_alu instid0(VALU_DEP_4)
	v_dual_add_f32 v27, v27, v29 :: v_dual_add_f32 v16, v16, v26
	v_dual_sub_f32 v19, v19, v18 :: v_dual_mul_f32 v28, 0x3d64c772, v24
	v_dual_add_f32 v0, v32, v0 :: v_dual_sub_f32 v21, v18, v21
	v_dual_add_f32 v18, v33, v18 :: v_dual_mul_f32 v23, 0x3f4a47b2, v23
	v_dual_mul_f32 v29, 0x3d64c772, v25 :: v_dual_fmamk_f32 v24, v24, 0x3d64c772, v22
	v_dual_mul_f32 v32, 0xbf08b237, v34 :: v_dual_mul_f32 v33, 0xbf08b237, v35
	v_dual_mul_f32 v34, 0x3f5ff5aa, v1 :: v_dual_mul_f32 v35, 0x3f5ff5aa, v19
	v_add_f32_e32 v17, v17, v27
	v_fma_f32 v28, 0x3f3bfb3b, v30, -v28
	v_fma_f32 v29, 0x3f3bfb3b, v31, -v29
	;; [unrolled: 1-line block ×3, first 2 shown]
	v_fmamk_f32 v30, v20, 0x3eae86e6, v32
	v_fma_f32 v1, 0x3f5ff5aa, v1, -v32
	v_fma_f32 v32, 0x3f5ff5aa, v19, -v33
	v_fmamk_f32 v19, v26, 0xbf955555, v16
	v_fmamk_f32 v25, v25, 0x3d64c772, v23
	v_fma_f32 v23, 0xbf3bfb3b, v31, -v23
	v_fmamk_f32 v31, v21, 0x3eae86e6, v33
	v_fma_f32 v33, 0xbeae86e6, v20, -v34
	;; [unrolled: 2-line block ×3, first 2 shown]
	v_fmac_f32_e32 v30, 0x3ee1c552, v0
	v_dual_fmac_f32 v1, 0x3ee1c552, v0 :: v_dual_fmac_f32 v32, 0x3ee1c552, v18
	s_delay_alu instid0(VALU_DEP_3)
	v_dual_fmac_f32 v33, 0x3ee1c552, v0 :: v_dual_fmac_f32 v34, 0x3ee1c552, v18
	v_dual_add_f32 v0, v24, v19 :: v_dual_add_f32 v35, v25, v20
	v_add_f32_e32 v26, v22, v19
	v_dual_add_f32 v24, v28, v19 :: v_dual_fmac_f32 v31, 0x3ee1c552, v18
	v_add_f32_e32 v27, v23, v20
	v_add_f32_e32 v25, v29, v20
	s_delay_alu instid0(VALU_DEP_3) | instskip(NEXT) | instid1(VALU_DEP_4)
	v_dual_sub_f32 v19, v35, v30 :: v_dual_sub_f32 v22, v24, v32
	v_add_f32_e32 v18, v31, v0
	v_add_f32_e32 v20, v34, v26
	v_dual_sub_f32 v26, v26, v34 :: v_dual_sub_f32 v21, v27, v33
	v_add_f32_e32 v24, v32, v24
	v_dual_sub_f32 v0, v0, v31 :: v_dual_add_f32 v23, v1, v25
	v_sub_f32_e32 v25, v25, v1
	v_add_f32_e32 v27, v33, v27
	v_add_f32_e32 v1, v30, v35
	ds_store_2addr_b64 v58, v[16:17], v[18:19] offset1:11
	ds_store_2addr_b64 v58, v[20:21], v[22:23] offset0:22 offset1:33
	ds_store_2addr_b64 v58, v[24:25], v[26:27] offset0:44 offset1:55
	ds_store_b64 v58, v[0:1] offset:528
	global_wb scope:SCOPE_SE
	s_wait_dscnt 0x0
	s_barrier_signal -1
	s_barrier_wait -1
	global_inv scope:SCOPE_SE
	ds_load_2addr_b64 v[28:31], v57 offset1:33
	ds_load_2addr_b64 v[32:35], v57 offset0:77 offset1:110
	ds_load_2addr_b64 v[36:39], v57 offset0:154 offset1:187
	s_and_saveexec_b32 s1, s0
	s_cbranch_execz .LBB0_9
; %bb.8:
	ds_load_2addr_b64 v[0:3], v57 offset0:66 offset1:143
	ds_load_b64 v[40:41], v57 offset:1760
.LBB0_9:
	s_wait_alu 0xfffe
	s_or_b32 exec_lo, exec_lo, s1
	v_lshlrev_b32_e32 v16, 4, v51
	v_add_co_u32 v18, s1, 0x42, v51
	s_wait_alu 0xf1ff
	v_add_co_ci_u32_e64 v17, null, 0, 0, s1
	global_load_b128 v[20:23], v16, s[2:3] offset:528
	v_lshl_add_u32 v56, v51, 3, v54
	v_add_nc_u32_e32 v59, v52, v54
	s_wait_loadcnt_dscnt 0x1
	v_dual_mul_f32 v43, v32, v21 :: v_dual_add_nc_u32 v16, 0x210, v16
	s_wait_dscnt 0x0
	v_mul_f32_e32 v49, v37, v23
	v_mul_f32_e32 v42, v33, v21
	s_delay_alu instid0(VALU_DEP_3)
	v_dual_mul_f32 v50, v36, v23 :: v_dual_fmac_f32 v43, v33, v20
	global_load_b128 v[24:27], v16, s[2:3] offset:528
	v_add_co_u32 v16, s1, v51, -11
	s_wait_alu 0xf1ff
	v_add_co_ci_u32_e64 v19, null, 0, -1, s1
	v_fma_f32 v32, v32, v20, -v42
	s_delay_alu instid0(VALU_DEP_3) | instskip(SKIP_1) | instid1(VALU_DEP_4)
	v_cndmask_b32_e64 v16, v16, v18, s0
	v_fma_f32 v33, v36, v22, -v49
	v_cndmask_b32_e64 v17, v19, v17, s0
	v_fmac_f32_e32 v50, v37, v22
	v_add_f32_e32 v37, v29, v43
	s_delay_alu instid0(VALU_DEP_3) | instskip(NEXT) | instid1(VALU_DEP_1)
	v_lshlrev_b64_e32 v[16:17], 4, v[16:17]
	v_add_co_u32 v16, s1, s2, v16
	s_wait_alu 0xf1ff
	s_delay_alu instid0(VALU_DEP_2)
	v_add_co_ci_u32_e64 v17, s1, s3, v17, s1
	global_load_b128 v[16:19], v[16:17], off offset:528
	s_wait_loadcnt 0x1
	v_mul_f32_e32 v36, v35, v25
	v_dual_mul_f32 v42, v34, v25 :: v_dual_mul_f32 v49, v39, v27
	v_mul_f32_e32 v60, v38, v27
	s_delay_alu instid0(VALU_DEP_2) | instskip(NEXT) | instid1(VALU_DEP_3)
	v_fmac_f32_e32 v42, v35, v24
	v_fma_f32 v38, v38, v26, -v49
	s_delay_alu instid0(VALU_DEP_3)
	v_dual_fmac_f32 v60, v39, v26 :: v_dual_add_f32 v35, v28, v32
	v_fma_f32 v34, v34, v24, -v36
	v_sub_f32_e32 v49, v32, v33
	v_dual_add_f32 v36, v32, v33 :: v_dual_sub_f32 v39, v43, v50
	v_add_f32_e32 v43, v43, v50
	v_dual_add_f32 v32, v35, v33 :: v_dual_add_f32 v33, v37, v50
	s_delay_alu instid0(VALU_DEP_3) | instskip(SKIP_1) | instid1(VALU_DEP_4)
	v_fma_f32 v36, -0.5, v36, v28
	v_add_f32_e32 v28, v30, v34
	v_fma_f32 v37, -0.5, v43, v29
	v_add_f32_e32 v29, v34, v38
	s_delay_alu instid0(VALU_DEP_4) | instskip(NEXT) | instid1(VALU_DEP_3)
	v_dual_sub_f32 v61, v34, v38 :: v_dual_fmamk_f32 v34, v39, 0x3f5db3d7, v36
	v_dual_add_f32 v50, v31, v42 :: v_dual_fmamk_f32 v35, v49, 0xbf5db3d7, v37
	v_fmac_f32_e32 v37, 0x3f5db3d7, v49
	s_wait_loadcnt 0x0
	v_mul_f32_e32 v62, v3, v17
	v_mul_f32_e32 v63, v2, v17
	v_sub_f32_e32 v43, v42, v60
	v_add_f32_e32 v42, v42, v60
	v_mul_f32_e32 v64, v41, v19
	v_mul_f32_e32 v65, v40, v19
	v_dual_add_f32 v38, v28, v38 :: v_dual_fmac_f32 v63, v3, v16
	v_fma_f32 v30, -0.5, v29, v30
	v_fmac_f32_e32 v31, -0.5, v42
	v_fma_f32 v2, v2, v16, -v62
	v_fma_f32 v3, v40, v18, -v64
	s_delay_alu instid0(VALU_DEP_4) | instskip(NEXT) | instid1(VALU_DEP_4)
	v_dual_fmac_f32 v65, v41, v18 :: v_dual_fmamk_f32 v28, v43, 0x3f5db3d7, v30
	v_dual_fmac_f32 v30, 0xbf5db3d7, v43 :: v_dual_fmamk_f32 v29, v61, 0xbf5db3d7, v31
	s_delay_alu instid0(VALU_DEP_3) | instskip(NEXT) | instid1(VALU_DEP_3)
	v_dual_add_f32 v40, v2, v3 :: v_dual_add_f32 v41, v0, v2
	v_add_f32_e32 v42, v63, v65
	v_fmac_f32_e32 v31, 0x3f5db3d7, v61
	v_dual_sub_f32 v43, v63, v65 :: v_dual_sub_f32 v2, v2, v3
	s_delay_alu instid0(VALU_DEP_4) | instskip(NEXT) | instid1(VALU_DEP_4)
	v_dual_fmac_f32 v0, -0.5, v40 :: v_dual_add_f32 v49, v1, v63
	v_dual_fmac_f32 v1, -0.5, v42 :: v_dual_add_f32 v40, v41, v3
	v_dual_fmac_f32 v36, 0xbf5db3d7, v39 :: v_dual_add_f32 v39, v50, v60
	s_delay_alu instid0(VALU_DEP_3) | instskip(NEXT) | instid1(VALU_DEP_3)
	v_dual_fmamk_f32 v42, v43, 0x3f5db3d7, v0 :: v_dual_add_f32 v41, v49, v65
	v_dual_fmac_f32 v0, 0xbf5db3d7, v43 :: v_dual_fmamk_f32 v43, v2, 0xbf5db3d7, v1
	v_fmac_f32_e32 v1, 0x3f5db3d7, v2
	ds_store_2addr_b64 v56, v[34:35], v[36:37] offset0:77 offset1:154
	ds_store_2addr_b64 v56, v[32:33], v[38:39] offset1:33
	ds_store_2addr_b64 v59, v[28:29], v[30:31] offset0:110 offset1:187
	s_and_saveexec_b32 s1, s0
	s_cbranch_execz .LBB0_11
; %bb.10:
	ds_store_2addr_b64 v56, v[40:41], v[42:43] offset0:66 offset1:143
	ds_store_b64 v56, v[0:1] offset:1760
.LBB0_11:
	s_wait_alu 0xfffe
	s_or_b32 exec_lo, exec_lo, s1
	global_wb scope:SCOPE_SE
	s_wait_dscnt 0x0
	s_barrier_signal -1
	s_barrier_wait -1
	global_inv scope:SCOPE_SE
	s_and_saveexec_b32 s1, vcc_lo
	s_cbranch_execz .LBB0_13
; %bb.12:
	s_add_nc_u64 s[2:3], s[12:13], 0x738
	s_clause 0xa
	global_load_b64 v[2:3], v52, s[12:13] offset:1848
	global_load_b64 v[49:50], v52, s[2:3] offset:168
	;; [unrolled: 1-line block ×11, first 2 shown]
	ds_load_2addr_b64 v[60:63], v56 offset1:21
	ds_load_2addr_b64 v[64:67], v56 offset0:42 offset1:63
	ds_load_2addr_b64 v[68:71], v56 offset0:84 offset1:105
	;; [unrolled: 1-line block ×4, first 2 shown]
	ds_load_b64 v[98:99], v56 offset:1680
	s_wait_loadcnt_dscnt 0xa05
	v_mul_f32_e32 v100, v61, v3
	s_wait_loadcnt 0x9
	v_dual_mul_f32 v101, v60, v3 :: v_dual_mul_f32 v102, v63, v50
	v_mul_f32_e32 v3, v62, v50
	s_wait_loadcnt_dscnt 0x704
	v_dual_mul_f32 v103, v65, v81 :: v_dual_mul_f32 v104, v67, v83
	v_dual_mul_f32 v50, v64, v81 :: v_dual_mul_f32 v81, v66, v83
	s_wait_loadcnt_dscnt 0x503
	v_dual_mul_f32 v105, v69, v85 :: v_dual_mul_f32 v106, v71, v87
	s_wait_loadcnt_dscnt 0x302
	v_dual_mul_f32 v83, v68, v85 :: v_dual_mul_f32 v108, v75, v91
	v_dual_mul_f32 v85, v70, v87 :: v_dual_fmac_f32 v50, v65, v80
	s_wait_loadcnt_dscnt 0x101
	v_dual_mul_f32 v107, v73, v89 :: v_dual_mul_f32 v110, v79, v95
	v_mul_f32_e32 v87, v72, v89
	v_mul_f32_e32 v89, v74, v91
	;; [unrolled: 1-line block ×5, first 2 shown]
	s_wait_loadcnt_dscnt 0x0
	v_mul_f32_e32 v111, v99, v97
	v_mul_f32_e32 v95, v98, v97
	v_fma_f32 v100, v60, v2, -v100
	v_fmac_f32_e32 v101, v61, v2
	v_fma_f32 v2, v62, v49, -v102
	v_fmac_f32_e32 v3, v63, v49
	v_fma_f32 v49, v64, v80, -v103
	v_fma_f32 v80, v66, v82, -v104
	v_fmac_f32_e32 v81, v67, v82
	v_fma_f32 v82, v68, v84, -v105
	v_fmac_f32_e32 v83, v69, v84
	;; [unrolled: 2-line block ×8, first 2 shown]
	ds_store_2addr_b64 v56, v[100:101], v[2:3] offset1:21
	ds_store_2addr_b64 v56, v[49:50], v[80:81] offset0:42 offset1:63
	ds_store_2addr_b64 v56, v[82:83], v[84:85] offset0:84 offset1:105
	;; [unrolled: 1-line block ×4, first 2 shown]
	ds_store_b64 v56, v[94:95] offset:1680
.LBB0_13:
	s_wait_alu 0xfffe
	s_or_b32 exec_lo, exec_lo, s1
	global_wb scope:SCOPE_SE
	s_wait_dscnt 0x0
	s_barrier_signal -1
	s_barrier_wait -1
	global_inv scope:SCOPE_SE
	s_and_saveexec_b32 s1, vcc_lo
	s_cbranch_execz .LBB0_15
; %bb.14:
	ds_load_2addr_b64 v[0:3], v56 offset0:168 offset1:189
	ds_load_2addr_b64 v[32:35], v56 offset1:21
	ds_load_2addr_b64 v[36:39], v56 offset0:42 offset1:63
	ds_load_2addr_b64 v[28:31], v56 offset0:84 offset1:105
	;; [unrolled: 1-line block ×3, first 2 shown]
	ds_load_b64 v[45:46], v56 offset:1680
	s_wait_dscnt 0x5
	v_dual_mov_b32 v47, v2 :: v_dual_mov_b32 v48, v3
.LBB0_15:
	s_wait_alu 0xfffe
	s_or_b32 exec_lo, exec_lo, s1
	s_wait_dscnt 0x0
	s_delay_alu instid0(VALU_DEP_1) | instskip(SKIP_3) | instid1(VALU_DEP_4)
	v_dual_sub_f32 v70, v35, v46 :: v_dual_add_f32 v75, v48, v37
	v_add_f32_e32 v74, v46, v35
	v_dual_add_f32 v60, v45, v34 :: v_dual_add_f32 v61, v47, v36
	v_dual_sub_f32 v62, v34, v45 :: v_dual_sub_f32 v71, v37, v48
	v_mul_f32_e32 v81, 0xbf7d64f0, v70
	s_delay_alu instid0(VALU_DEP_4) | instskip(SKIP_1) | instid1(VALU_DEP_3)
	v_dual_mul_f32 v83, 0xbe11bafb, v74 :: v_dual_sub_f32 v72, v39, v1
	v_dual_mul_f32 v86, 0xbf4178ce, v70 :: v_dual_sub_f32 v63, v36, v47
	v_fma_f32 v2, 0xbe11bafb, v60, -v81
	v_dual_mul_f32 v89, 0xbf27a4f4, v74 :: v_dual_add_f32 v78, v1, v39
	s_delay_alu instid0(VALU_DEP_4) | instskip(NEXT) | instid1(VALU_DEP_4)
	v_fmamk_f32 v3, v62, 0xbf7d64f0, v83
	v_fma_f32 v49, 0xbf27a4f4, v60, -v86
	s_delay_alu instid0(VALU_DEP_4)
	v_add_f32_e32 v2, v32, v2
	v_mul_f32_e32 v80, 0x3e903f40, v71
	v_dual_mul_f32 v84, 0xbf75a155, v75 :: v_dual_sub_f32 v65, v38, v0
	v_dual_mul_f32 v90, 0x3f7d64f0, v71 :: v_dual_add_f32 v77, v43, v29
	v_dual_fmamk_f32 v50, v62, 0xbf4178ce, v89 :: v_dual_add_f32 v3, v33, v3
	v_add_f32_e32 v49, v32, v49
	v_fma_f32 v64, 0xbf75a155, v61, -v80
	v_dual_fmamk_f32 v66, v63, 0x3e903f40, v84 :: v_dual_sub_f32 v73, v29, v43
	v_mul_f32_e32 v94, 0xbe11bafb, v75
	v_mul_f32_e32 v87, 0x3ed4b147, v78
	v_fma_f32 v67, 0xbe11bafb, v61, -v90
	s_delay_alu instid0(VALU_DEP_4) | instskip(SKIP_1) | instid1(VALU_DEP_4)
	v_dual_add_f32 v50, v33, v50 :: v_dual_add_f32 v3, v66, v3
	v_add_f32_e32 v2, v64, v2
	v_fmamk_f32 v66, v65, 0x3f68dda4, v87
	s_delay_alu instid0(VALU_DEP_4) | instskip(SKIP_2) | instid1(VALU_DEP_4)
	v_dual_add_f32 v64, v0, v38 :: v_dual_add_f32 v49, v67, v49
	v_mul_f32_e32 v96, 0x3f575c64, v78
	v_dual_mul_f32 v92, 0xbf0a6770, v72 :: v_dual_sub_f32 v67, v28, v42
	v_dual_fmamk_f32 v68, v63, 0x3f7d64f0, v94 :: v_dual_add_f32 v3, v66, v3
	v_dual_add_f32 v66, v42, v28 :: v_dual_mul_f32 v85, 0xbf0a6770, v73
	s_delay_alu instid0(VALU_DEP_2) | instskip(NEXT) | instid1(VALU_DEP_4)
	v_dual_mul_f32 v91, 0x3f575c64, v77 :: v_dual_add_f32 v50, v68, v50
	v_fma_f32 v68, 0x3f575c64, v64, -v92
	v_mul_f32_e32 v82, 0x3f68dda4, v72
	s_delay_alu instid0(VALU_DEP_4)
	v_fma_f32 v76, 0x3f575c64, v66, -v85
	v_mul_f32_e32 v98, 0xbf75a155, v77
	global_wb scope:SCOPE_SE
	v_add_f32_e32 v49, v68, v49
	v_fma_f32 v69, 0x3ed4b147, v64, -v82
	s_barrier_signal -1
	s_barrier_wait -1
	global_inv scope:SCOPE_SE
	v_add_f32_e32 v2, v69, v2
	v_fmamk_f32 v69, v65, 0xbf0a6770, v96
	s_delay_alu instid0(VALU_DEP_2) | instskip(NEXT) | instid1(VALU_DEP_2)
	v_dual_mul_f32 v95, 0xbe903f40, v73 :: v_dual_add_f32 v2, v76, v2
	v_add_f32_e32 v50, v69, v50
	s_delay_alu instid0(VALU_DEP_2) | instskip(NEXT) | instid1(VALU_DEP_1)
	v_fma_f32 v79, 0xbf75a155, v66, -v95
	v_dual_sub_f32 v69, v30, v40 :: v_dual_add_f32 v100, v79, v49
	v_add_f32_e32 v79, v41, v31
	v_fmamk_f32 v49, v67, 0xbe903f40, v98
	v_fmamk_f32 v68, v67, 0xbf0a6770, v91
	s_delay_alu instid0(VALU_DEP_3) | instskip(SKIP_1) | instid1(VALU_DEP_4)
	v_dual_sub_f32 v76, v31, v41 :: v_dual_mul_f32 v99, 0x3ed4b147, v79
	v_mul_f32_e32 v93, 0xbf27a4f4, v79
	v_add_f32_e32 v101, v49, v50
	s_delay_alu instid0(VALU_DEP_4) | instskip(NEXT) | instid1(VALU_DEP_4)
	v_add_f32_e32 v3, v68, v3
	v_dual_add_f32 v68, v40, v30 :: v_dual_mul_f32 v97, 0x3f68dda4, v76
	s_delay_alu instid0(VALU_DEP_4) | instskip(SKIP_1) | instid1(VALU_DEP_3)
	v_fmamk_f32 v50, v69, 0xbf4178ce, v93
	v_fmamk_f32 v103, v69, 0x3f68dda4, v99
	v_fma_f32 v102, 0x3ed4b147, v68, -v97
	s_delay_alu instid0(VALU_DEP_3) | instskip(NEXT) | instid1(VALU_DEP_3)
	v_add_f32_e32 v50, v50, v3
	v_dual_mul_f32 v88, 0xbf4178ce, v76 :: v_dual_add_f32 v3, v103, v101
	s_delay_alu instid0(VALU_DEP_1) | instskip(NEXT) | instid1(VALU_DEP_1)
	v_fma_f32 v49, 0xbf27a4f4, v68, -v88
	v_dual_add_f32 v49, v49, v2 :: v_dual_add_f32 v2, v102, v100
	s_and_saveexec_b32 s1, vcc_lo
	s_cbranch_execz .LBB0_17
; %bb.16:
	v_dual_mul_f32 v104, 0xbf75a155, v61 :: v_dual_mul_f32 v109, 0xbf75a155, v74
	v_dual_mul_f32 v118, 0xbe903f40, v67 :: v_dual_mul_f32 v123, 0xbe903f40, v70
	v_mul_f32_e32 v105, 0x3e903f40, v63
	v_mul_f32_e32 v117, 0xbf75a155, v66
	s_delay_alu instid0(VALU_DEP_4)
	v_fmamk_f32 v114, v62, 0x3e903f40, v109
	v_mul_f32_e32 v103, 0xbf27a4f4, v60
	v_fmamk_f32 v126, v60, 0xbf75a155, v123
	v_mul_f32_e32 v115, 0x3f575c64, v75
	v_mul_f32_e32 v100, 0xbf4178ce, v62
	v_add_f32_e32 v114, v33, v114
	v_dual_mul_f32 v120, 0xbf27a4f4, v78 :: v_dual_mul_f32 v121, 0xbf27a4f4, v68
	v_add_f32_e32 v126, v32, v126
	v_dual_mul_f32 v112, 0xbf0a6770, v65 :: v_dual_fmamk_f32 v119, v63, 0xbf0a6770, v115
	v_dual_mul_f32 v102, 0xbf7d64f0, v62 :: v_dual_sub_f32 v89, v89, v100
	v_mul_f32_e32 v107, 0x3f7d64f0, v63
	v_dual_mul_f32 v124, 0x3ed4b147, v77 :: v_dual_mul_f32 v125, 0x3ed4b147, v68
	s_delay_alu instid0(VALU_DEP_4) | instskip(SKIP_1) | instid1(VALU_DEP_4)
	v_dual_add_f32 v114, v119, v114 :: v_dual_fmamk_f32 v119, v65, 0x3f4178ce, v120
	v_mul_f32_e32 v111, 0x3f575c64, v64
	v_dual_mul_f32 v113, 0x3f575c64, v66 :: v_dual_sub_f32 v94, v94, v107
	s_delay_alu instid0(VALU_DEP_3) | instskip(SKIP_2) | instid1(VALU_DEP_3)
	v_dual_add_f32 v89, v33, v89 :: v_dual_add_f32 v114, v119, v114
	v_fmamk_f32 v119, v67, 0xbf68dda4, v124
	v_dual_mul_f32 v101, 0xbe11bafb, v60 :: v_dual_mul_f32 v106, 0xbe11bafb, v61
	v_dual_mul_f32 v108, 0x3ed4b147, v64 :: v_dual_add_f32 v89, v94, v89
	s_delay_alu instid0(VALU_DEP_3) | instskip(SKIP_2) | instid1(VALU_DEP_3)
	v_dual_mul_f32 v127, 0x3f0a6770, v71 :: v_dual_add_f32 v114, v119, v114
	v_dual_mul_f32 v119, 0xbe11bafb, v79 :: v_dual_sub_f32 v94, v96, v112
	v_mul_f32_e32 v116, 0xbf0a6770, v67
	v_dual_fmamk_f32 v129, v61, 0x3f575c64, v127 :: v_dual_add_f32 v86, v103, v86
	v_dual_mul_f32 v103, 0xbf7d64f0, v76 :: v_dual_add_f32 v90, v106, v90
	s_delay_alu instid0(VALU_DEP_4)
	v_add_f32_e32 v89, v94, v89
	v_dual_sub_f32 v94, v98, v118 :: v_dual_add_f32 v81, v101, v81
	v_mul_f32_e32 v130, 0xbf4178ce, v72
	v_dual_mul_f32 v122, 0xbf4178ce, v69 :: v_dual_sub_f32 v83, v83, v102
	v_mul_f32_e32 v128, 0x3f68dda4, v69
	v_add_f32_e32 v100, v129, v126
	v_dual_fmamk_f32 v131, v69, 0x3f7d64f0, v119 :: v_dual_add_f32 v86, v32, v86
	v_dual_fmamk_f32 v98, v68, 0xbe11bafb, v103 :: v_dual_add_f32 v89, v94, v89
	v_fmamk_f32 v126, v64, 0xbf27a4f4, v130
	v_mul_f32_e32 v110, 0x3f68dda4, v65
	s_delay_alu instid0(VALU_DEP_4) | instskip(SKIP_1) | instid1(VALU_DEP_4)
	v_add_f32_e32 v86, v90, v86
	v_dual_add_f32 v90, v111, v92 :: v_dual_add_f32 v83, v33, v83
	v_add_f32_e32 v107, v126, v100
	v_dual_mul_f32 v129, 0x3f68dda4, v73 :: v_dual_sub_f32 v92, v99, v128
	v_add_f32_e32 v81, v32, v81
	v_dual_sub_f32 v87, v87, v110 :: v_dual_sub_f32 v84, v84, v105
	s_delay_alu instid0(VALU_DEP_3) | instskip(SKIP_2) | instid1(VALU_DEP_4)
	v_fmamk_f32 v126, v66, 0x3ed4b147, v129
	v_dual_add_f32 v80, v104, v80 :: v_dual_add_f32 v85, v113, v85
	v_add_f32_e32 v35, v35, v33
	v_add_f32_e32 v83, v84, v83
	;; [unrolled: 1-line block ×3, first 2 shown]
	v_dual_add_f32 v89, v125, v97 :: v_dual_add_f32 v86, v90, v86
	v_add_f32_e32 v90, v117, v95
	s_delay_alu instid0(VALU_DEP_4) | instskip(SKIP_1) | instid1(VALU_DEP_3)
	v_dual_add_f32 v87, v87, v83 :: v_dual_add_f32 v80, v80, v81
	v_dual_add_f32 v81, v108, v82 :: v_dual_add_f32 v96, v126, v107
	v_add_f32_e32 v86, v90, v86
	v_dual_sub_f32 v90, v91, v116 :: v_dual_mul_f32 v91, 0x3ed4b147, v74
	s_delay_alu instid0(VALU_DEP_3) | instskip(SKIP_1) | instid1(VALU_DEP_3)
	v_add_f32_e32 v80, v81, v80
	v_dual_mul_f32 v74, 0x3f575c64, v74 :: v_dual_add_f32 v35, v37, v35
	v_dual_add_f32 v83, v89, v86 :: v_dual_add_f32 v86, v90, v87
	s_delay_alu instid0(VALU_DEP_4) | instskip(NEXT) | instid1(VALU_DEP_4)
	v_fmamk_f32 v87, v62, 0x3f68dda4, v91
	v_dual_mul_f32 v89, 0xbf27a4f4, v75 :: v_dual_add_f32 v80, v85, v80
	v_mul_f32_e32 v75, 0x3ed4b147, v75
	v_add_f32_e32 v85, v121, v88
	s_delay_alu instid0(VALU_DEP_3) | instskip(SKIP_2) | instid1(VALU_DEP_4)
	v_dual_add_f32 v87, v33, v87 :: v_dual_fmamk_f32 v90, v63, 0x3f4178ce, v89
	v_mul_f32_e32 v88, 0xbf68dda4, v70
	v_sub_f32_e32 v82, v93, v122
	v_dual_add_f32 v80, v85, v80 :: v_dual_mul_f32 v93, 0xbf4178ce, v71
	v_mul_f32_e32 v95, 0x3e903f40, v72
	s_delay_alu instid0(VALU_DEP_4) | instskip(NEXT) | instid1(VALU_DEP_4)
	v_fmamk_f32 v85, v60, 0x3ed4b147, v88
	v_add_f32_e32 v81, v82, v86
	v_add_f32_e32 v82, v90, v87
	v_mul_f32_e32 v90, 0x3f575c64, v79
	s_delay_alu instid0(VALU_DEP_4) | instskip(SKIP_2) | instid1(VALU_DEP_3)
	v_dual_mul_f32 v92, 0xbf75a155, v78 :: v_dual_add_f32 v85, v32, v85
	v_dual_fmamk_f32 v94, v61, 0xbf27a4f4, v93 :: v_dual_add_f32 v35, v39, v35
	v_dual_add_f32 v34, v34, v32 :: v_dual_mul_f32 v39, 0xbf68dda4, v71
	v_dual_add_f32 v99, v98, v96 :: v_dual_fmamk_f32 v86, v65, 0xbe903f40, v92
	s_delay_alu instid0(VALU_DEP_3)
	v_add_f32_e32 v85, v94, v85
	v_mul_f32_e32 v87, 0xbe11bafb, v77
	v_fmamk_f32 v94, v64, 0xbf75a155, v95
	v_mul_f32_e32 v96, 0x3f7d64f0, v73
	v_add_f32_e32 v34, v36, v34
	v_dual_add_f32 v82, v86, v82 :: v_dual_fmamk_f32 v97, v63, 0x3f68dda4, v75
	s_delay_alu instid0(VALU_DEP_4) | instskip(NEXT) | instid1(VALU_DEP_4)
	v_add_f32_e32 v85, v94, v85
	v_fmamk_f32 v94, v66, 0xbe11bafb, v96
	v_fmamk_f32 v86, v67, 0xbf7d64f0, v87
	v_add_f32_e32 v34, v38, v34
	v_fmamk_f32 v38, v61, 0x3ed4b147, v39
	v_mul_f32_e32 v98, 0x3f0a6770, v76
	v_dual_mul_f32 v78, 0xbe11bafb, v78 :: v_dual_add_f32 v85, v94, v85
	v_dual_add_f32 v82, v86, v82 :: v_dual_mul_f32 v77, 0xbf27a4f4, v77
	s_delay_alu instid0(VALU_DEP_3) | instskip(SKIP_2) | instid1(VALU_DEP_4)
	v_fmamk_f32 v94, v68, 0x3f575c64, v98
	v_fmamk_f32 v86, v69, 0xbf0a6770, v90
	v_dual_mul_f32 v70, 0xbf0a6770, v70 :: v_dual_add_f32 v29, v29, v35
	v_fmamk_f32 v37, v67, 0x3f4178ce, v77
	s_delay_alu instid0(VALU_DEP_4) | instskip(NEXT) | instid1(VALU_DEP_4)
	v_add_f32_e32 v85, v94, v85
	v_add_f32_e32 v86, v86, v82
	v_fmamk_f32 v82, v62, 0x3f0a6770, v74
	v_mul_f32_e32 v35, 0xbf75a155, v79
	v_add_f32_e32 v29, v31, v29
	v_fmac_f32_e32 v109, 0xbe903f40, v62
	s_delay_alu instid0(VALU_DEP_4) | instskip(NEXT) | instid1(VALU_DEP_4)
	v_dual_fmac_f32 v115, 0x3f0a6770, v63 :: v_dual_add_f32 v82, v33, v82
	v_fmamk_f32 v31, v69, 0x3e903f40, v35
	v_dual_fmac_f32 v120, 0xbf4178ce, v65 :: v_dual_fmac_f32 v77, 0xbf4178ce, v67
	v_fmac_f32_e32 v91, 0xbf68dda4, v62
	s_delay_alu instid0(VALU_DEP_4) | instskip(SKIP_4) | instid1(VALU_DEP_4)
	v_add_f32_e32 v82, v97, v82
	v_fmamk_f32 v97, v65, 0x3f7d64f0, v78
	v_fmac_f32_e32 v124, 0x3f68dda4, v67
	v_fmac_f32_e32 v89, 0xbf4178ce, v63
	;; [unrolled: 1-line block ×3, first 2 shown]
	v_dual_fmac_f32 v119, 0xbf7d64f0, v69 :: v_dual_add_f32 v82, v97, v82
	v_fmac_f32_e32 v90, 0x3f0a6770, v69
	v_fmac_f32_e32 v92, 0x3e903f40, v65
	v_dual_add_f32 v100, v131, v114 :: v_dual_fmac_f32 v87, 0x3f7d64f0, v67
	s_delay_alu instid0(VALU_DEP_4) | instskip(SKIP_2) | instid1(VALU_DEP_3)
	v_dual_add_f32 v36, v37, v82 :: v_dual_fmamk_f32 v37, v60, 0x3f575c64, v70
	v_fmac_f32_e32 v75, 0xbf68dda4, v63
	v_fmac_f32_e32 v35, 0xbe903f40, v69
	v_add_f32_e32 v37, v32, v37
	v_fmac_f32_e32 v78, 0xbf7d64f0, v65
	s_delay_alu instid0(VALU_DEP_2) | instskip(SKIP_2) | instid1(VALU_DEP_2)
	v_add_f32_e32 v37, v38, v37
	v_dual_add_f32 v38, v41, v29 :: v_dual_add_f32 v29, v31, v36
	v_mul_f32_e32 v41, 0xbf4178ce, v73
	v_dual_add_f32 v31, v43, v38 :: v_dual_add_f32 v38, v33, v91
	s_delay_alu instid0(VALU_DEP_1) | instskip(NEXT) | instid1(VALU_DEP_1)
	v_dual_fmamk_f32 v36, v66, 0xbf27a4f4, v41 :: v_dual_add_f32 v1, v1, v31
	v_dual_add_f32 v38, v89, v38 :: v_dual_add_f32 v1, v48, v1
	v_add_f32_e32 v28, v28, v34
	v_mul_f32_e32 v34, 0xbf7d64f0, v72
	s_delay_alu instid0(VALU_DEP_3) | instskip(NEXT) | instid1(VALU_DEP_3)
	v_dual_add_f32 v38, v92, v38 :: v_dual_add_f32 v1, v46, v1
	v_add_f32_e32 v28, v30, v28
	s_delay_alu instid0(VALU_DEP_3) | instskip(NEXT) | instid1(VALU_DEP_2)
	v_fmamk_f32 v30, v64, 0xbe11bafb, v34
	v_add_f32_e32 v28, v40, v28
	s_delay_alu instid0(VALU_DEP_2) | instskip(SKIP_1) | instid1(VALU_DEP_3)
	v_dual_add_f32 v30, v30, v37 :: v_dual_mul_f32 v37, 0xbe903f40, v76
	v_fma_f32 v40, 0x3ed4b147, v60, -v88
	v_add_f32_e32 v28, v42, v28
	s_delay_alu instid0(VALU_DEP_3) | instskip(NEXT) | instid1(VALU_DEP_4)
	v_add_f32_e32 v30, v36, v30
	v_fmamk_f32 v31, v68, 0xbf75a155, v37
	s_delay_alu instid0(VALU_DEP_4)
	v_add_f32_e32 v40, v32, v40
	v_fma_f32 v42, 0xbf27a4f4, v61, -v93
	v_add_f32_e32 v0, v0, v28
	v_add_f32_e32 v36, v33, v109
	;; [unrolled: 1-line block ×3, first 2 shown]
	v_fma_f32 v37, 0xbf75a155, v68, -v37
	v_add_f32_e32 v40, v42, v40
	v_fma_f32 v42, 0xbf75a155, v64, -v95
	v_add_f32_e32 v28, v31, v30
	;; [unrolled: 2-line block ×4, first 2 shown]
	v_add_f32_e32 v0, v47, v0
	v_add_f32_e32 v30, v32, v30
	v_add_f32_e32 v31, v120, v31
	v_fma_f32 v34, 0xbe11bafb, v64, -v34
	s_delay_alu instid0(VALU_DEP_4) | instskip(NEXT) | instid1(VALU_DEP_4)
	v_dual_add_f32 v33, v78, v33 :: v_dual_add_f32 v0, v45, v0
	v_add_f32_e32 v30, v36, v30
	v_fma_f32 v36, 0xbf27a4f4, v64, -v130
	s_delay_alu instid0(VALU_DEP_1) | instskip(SKIP_1) | instid1(VALU_DEP_1)
	v_add_f32_e32 v30, v36, v30
	v_fma_f32 v36, 0x3ed4b147, v66, -v129
	v_add_f32_e32 v30, v36, v30
	v_fma_f32 v36, 0xbe11bafb, v68, -v103
	s_delay_alu instid0(VALU_DEP_1) | instskip(SKIP_2) | instid1(VALU_DEP_1)
	v_add_f32_e32 v30, v36, v30
	v_add_f32_e32 v36, v87, v38
	v_fma_f32 v38, 0x3f575c64, v60, -v70
	v_add_f32_e32 v32, v32, v38
	v_fma_f32 v38, 0x3ed4b147, v61, -v39
	;; [unrolled: 2-line block ×3, first 2 shown]
	s_delay_alu instid0(VALU_DEP_3) | instskip(NEXT) | instid1(VALU_DEP_2)
	v_add_f32_e32 v32, v38, v32
	v_add_f32_e32 v38, v40, v39
	v_and_b32_e32 v40, 0xffff, v55
	v_fma_f32 v39, 0x3f575c64, v68, -v98
	s_delay_alu instid0(VALU_DEP_4)
	v_add_f32_e32 v32, v34, v32
	v_fma_f32 v34, 0xbf27a4f4, v66, -v41
	v_add_f32_e32 v41, v77, v33
	v_add_f32_e32 v33, v90, v36
	;; [unrolled: 1-line block ×3, first 2 shown]
	v_lshl_add_u32 v40, v40, 3, v54
	v_add_f32_e32 v34, v34, v32
	v_add_f32_e32 v32, v39, v38
	;; [unrolled: 1-line block ×3, first 2 shown]
	s_delay_alu instid0(VALU_DEP_3)
	v_dual_add_f32 v31, v119, v31 :: v_dual_add_f32 v34, v37, v34
	ds_store_2addr_b64 v40, v[0:1], v[28:29] offset1:1
	ds_store_2addr_b64 v40, v[85:86], v[80:81] offset0:2 offset1:3
	ds_store_2addr_b64 v40, v[83:84], v[99:100] offset0:4 offset1:5
	;; [unrolled: 1-line block ×4, first 2 shown]
	ds_store_b64 v40, v[34:35] offset:80
.LBB0_17:
	s_wait_alu 0xfffe
	s_or_b32 exec_lo, exec_lo, s1
	global_wb scope:SCOPE_SE
	s_wait_dscnt 0x0
	s_barrier_signal -1
	s_barrier_wait -1
	global_inv scope:SCOPE_SE
	ds_load_2addr_b64 v[28:31], v57 offset1:33
	ds_load_2addr_b64 v[32:35], v57 offset0:66 offset1:99
	ds_load_2addr_b64 v[36:39], v57 offset0:132 offset1:165
	ds_load_b64 v[0:1], v57 offset:1584
	global_wb scope:SCOPE_SE
	s_wait_dscnt 0x0
	s_barrier_signal -1
	s_barrier_wait -1
	global_inv scope:SCOPE_SE
	v_dual_mul_f32 v40, v13, v31 :: v_dual_mul_f32 v41, v15, v33
	v_dual_mul_f32 v15, v15, v32 :: v_dual_mul_f32 v42, v9, v35
	s_delay_alu instid0(VALU_DEP_2) | instskip(SKIP_1) | instid1(VALU_DEP_3)
	v_dual_mul_f32 v43, v11, v37 :: v_dual_fmac_f32 v40, v12, v30
	v_dual_mul_f32 v13, v13, v30 :: v_dual_mul_f32 v46, v7, v1
	v_dual_mul_f32 v11, v11, v36 :: v_dual_fmac_f32 v42, v8, v34
	s_delay_alu instid0(VALU_DEP_3) | instskip(SKIP_1) | instid1(VALU_DEP_4)
	v_fmac_f32_e32 v43, v10, v36
	v_mul_f32_e32 v7, v7, v0
	v_dual_mul_f32 v9, v9, v34 :: v_dual_fmac_f32 v46, v6, v0
	v_fma_f32 v12, v12, v31, -v13
	v_fmac_f32_e32 v41, v14, v32
	s_delay_alu instid0(VALU_DEP_4)
	v_fma_f32 v0, v6, v1, -v7
	v_mul_f32_e32 v45, v5, v39
	v_mul_f32_e32 v5, v5, v38
	v_fma_f32 v13, v14, v33, -v15
	v_fma_f32 v8, v8, v35, -v9
	v_add_f32_e32 v6, v12, v0
	v_sub_f32_e32 v0, v12, v0
	v_fmac_f32_e32 v45, v4, v38
	v_fma_f32 v4, v4, v39, -v5
	v_fma_f32 v1, v10, v37, -v11
	v_add_f32_e32 v5, v40, v46
	v_sub_f32_e32 v14, v43, v42
	s_delay_alu instid0(VALU_DEP_4) | instskip(SKIP_4) | instid1(VALU_DEP_3)
	v_add_f32_e32 v10, v13, v4
	v_sub_f32_e32 v4, v13, v4
	v_sub_f32_e32 v11, v41, v45
	v_add_f32_e32 v9, v41, v45
	v_add_f32_e32 v13, v8, v1
	v_dual_sub_f32 v1, v1, v8 :: v_dual_sub_f32 v34, v14, v11
	s_delay_alu instid0(VALU_DEP_3) | instskip(SKIP_2) | instid1(VALU_DEP_2)
	v_add_f32_e32 v8, v9, v5
	v_dual_add_f32 v12, v42, v43 :: v_dual_sub_f32 v7, v40, v46
	v_dual_sub_f32 v30, v9, v5 :: v_dual_add_f32 v15, v10, v6
	v_dual_sub_f32 v31, v10, v6 :: v_dual_sub_f32 v32, v5, v12
	v_sub_f32_e32 v6, v6, v13
	v_dual_sub_f32 v9, v12, v9 :: v_dual_sub_f32 v10, v13, v10
	v_add_f32_e32 v8, v12, v8
	s_delay_alu instid0(VALU_DEP_3)
	v_dual_add_f32 v33, v1, v4 :: v_dual_mul_f32 v6, 0x3f4a47b2, v6
	v_add_f32_e32 v5, v14, v11
	v_dual_sub_f32 v35, v1, v4 :: v_dual_sub_f32 v14, v7, v14
	v_sub_f32_e32 v11, v11, v7
	v_dual_add_f32 v12, v13, v15 :: v_dual_sub_f32 v13, v4, v0
	v_add_f32_e32 v4, v28, v8
	v_mul_f32_e32 v15, 0x3f4a47b2, v32
	v_mul_f32_e32 v28, 0x3d64c772, v9
	v_dual_sub_f32 v1, v0, v1 :: v_dual_mul_f32 v32, 0x3f08b237, v34
	v_add_f32_e32 v0, v33, v0
	v_dual_add_f32 v7, v5, v7 :: v_dual_fmamk_f32 v8, v8, 0xbf955555, v4
	v_add_f32_e32 v5, v29, v12
	v_fmamk_f32 v9, v9, 0x3d64c772, v15
	v_mul_f32_e32 v29, 0x3d64c772, v10
	v_fma_f32 v28, 0x3f3bfb3b, v30, -v28
	v_mul_f32_e32 v33, 0x3f08b237, v35
	v_fma_f32 v15, 0xbf3bfb3b, v30, -v15
	v_mul_f32_e32 v34, 0xbf5ff5aa, v11
	v_fmamk_f32 v10, v10, 0x3d64c772, v6
	v_fmamk_f32 v12, v12, 0xbf955555, v5
	v_fma_f32 v29, 0x3f3bfb3b, v31, -v29
	v_add_f32_e32 v15, v15, v8
	v_mul_f32_e32 v35, 0xbf5ff5aa, v13
	v_fma_f32 v13, 0xbf5ff5aa, v13, -v33
	v_fma_f32 v6, 0xbf3bfb3b, v31, -v6
	v_dual_fmamk_f32 v30, v14, 0xbeae86e6, v32 :: v_dual_fmamk_f32 v31, v1, 0xbeae86e6, v33
	v_fma_f32 v33, 0x3eae86e6, v14, -v34
	v_add_f32_e32 v14, v28, v8
	v_add_f32_e32 v28, v29, v12
	v_fma_f32 v1, 0x3eae86e6, v1, -v35
	v_fmac_f32_e32 v13, 0xbee1c552, v0
	v_fma_f32 v32, 0xbf5ff5aa, v11, -v32
	v_dual_add_f32 v35, v10, v12 :: v_dual_fmac_f32 v30, 0xbee1c552, v7
	v_add_f32_e32 v29, v6, v12
	s_delay_alu instid0(VALU_DEP_4) | instskip(SKIP_2) | instid1(VALU_DEP_3)
	v_dual_fmac_f32 v1, 0xbee1c552, v0 :: v_dual_add_f32 v12, v13, v14
	v_dual_fmac_f32 v31, 0xbee1c552, v0 :: v_dual_sub_f32 v10, v14, v13
	v_add_f32_e32 v34, v9, v8
	v_add_f32_e32 v8, v1, v15
	v_fmac_f32_e32 v32, 0xbee1c552, v7
	v_dual_fmac_f32 v33, 0xbee1c552, v7 :: v_dual_sub_f32 v14, v15, v1
	s_delay_alu instid0(VALU_DEP_4) | instskip(SKIP_1) | instid1(VALU_DEP_4)
	v_add_f32_e32 v6, v31, v34
	v_sub_f32_e32 v7, v35, v30
	v_add_f32_e32 v11, v32, v28
	s_delay_alu instid0(VALU_DEP_4)
	v_sub_f32_e32 v9, v29, v33
	v_dual_sub_f32 v13, v28, v32 :: v_dual_add_nc_u32 v28, 0x108, v59
	v_dual_add_f32 v15, v33, v29 :: v_dual_sub_f32 v0, v34, v31
	v_add_f32_e32 v1, v30, v35
	ds_store_2addr_b64 v58, v[4:5], v[6:7] offset1:11
	ds_store_2addr_b64 v58, v[8:9], v[10:11] offset0:22 offset1:33
	ds_store_2addr_b64 v58, v[12:13], v[14:15] offset0:44 offset1:55
	ds_store_b64 v58, v[0:1] offset:528
	global_wb scope:SCOPE_SE
	s_wait_dscnt 0x0
	s_barrier_signal -1
	s_barrier_wait -1
	global_inv scope:SCOPE_SE
	ds_load_2addr_b64 v[4:7], v57 offset1:33
	ds_load_2addr_b64 v[12:15], v57 offset0:77 offset1:110
	ds_load_2addr_b64 v[8:11], v57 offset0:154 offset1:187
	s_and_saveexec_b32 s1, s0
	s_cbranch_execz .LBB0_19
; %bb.18:
	ds_load_2addr_b64 v[0:3], v57 offset0:66 offset1:143
	ds_load_b64 v[49:50], v57 offset:1760
.LBB0_19:
	s_wait_alu 0xfffe
	s_or_b32 exec_lo, exec_lo, s1
	s_wait_dscnt 0x0
	v_mul_f32_e32 v30, v23, v9
	v_mul_f32_e32 v29, v21, v13
	;; [unrolled: 1-line block ×4, first 2 shown]
	s_delay_alu instid0(VALU_DEP_4) | instskip(NEXT) | instid1(VALU_DEP_4)
	v_fmac_f32_e32 v30, v22, v8
	v_fmac_f32_e32 v29, v20, v12
	s_delay_alu instid0(VALU_DEP_4) | instskip(SKIP_4) | instid1(VALU_DEP_4)
	v_fma_f32 v12, v20, v13, -v21
	v_mul_f32_e32 v20, v25, v15
	v_dual_mul_f32 v8, v25, v14 :: v_dual_mul_f32 v21, v27, v11
	v_fma_f32 v13, v22, v9, -v23
	v_mul_f32_e32 v9, v27, v10
	v_fmac_f32_e32 v20, v24, v14
	s_delay_alu instid0(VALU_DEP_4) | instskip(SKIP_4) | instid1(VALU_DEP_4)
	v_fma_f32 v14, v24, v15, -v8
	v_add_f32_e32 v8, v29, v30
	v_dual_fmac_f32 v21, v26, v10 :: v_dual_add_f32 v10, v4, v29
	v_fma_f32 v15, v26, v11, -v9
	v_add_f32_e32 v9, v12, v13
	v_fma_f32 v8, -0.5, v8, v4
	v_sub_f32_e32 v4, v12, v13
	v_dual_add_f32 v10, v10, v30 :: v_dual_add_f32 v11, v5, v12
	s_delay_alu instid0(VALU_DEP_4) | instskip(NEXT) | instid1(VALU_DEP_3)
	v_fma_f32 v9, -0.5, v9, v5
	v_dual_sub_f32 v5, v29, v30 :: v_dual_fmamk_f32 v12, v4, 0xbf5db3d7, v8
	s_delay_alu instid0(VALU_DEP_3) | instskip(NEXT) | instid1(VALU_DEP_2)
	v_dual_fmac_f32 v8, 0x3f5db3d7, v4 :: v_dual_add_f32 v11, v11, v13
	v_dual_add_f32 v4, v20, v21 :: v_dual_fmamk_f32 v13, v5, 0x3f5db3d7, v9
	v_dual_fmac_f32 v9, 0xbf5db3d7, v5 :: v_dual_add_f32 v22, v6, v20
	v_add_f32_e32 v23, v7, v14
	s_delay_alu instid0(VALU_DEP_3) | instskip(SKIP_2) | instid1(VALU_DEP_4)
	v_fma_f32 v6, -0.5, v4, v6
	v_sub_f32_e32 v4, v14, v15
	v_add_f32_e32 v5, v14, v15
	v_dual_add_f32 v14, v22, v21 :: v_dual_add_f32 v15, v23, v15
	s_delay_alu instid0(VALU_DEP_2) | instskip(SKIP_4) | instid1(VALU_DEP_4)
	v_fmac_f32_e32 v7, -0.5, v5
	v_sub_f32_e32 v5, v20, v21
	v_fmamk_f32 v20, v4, 0xbf5db3d7, v6
	v_fmac_f32_e32 v6, 0x3f5db3d7, v4
	v_lshl_add_u32 v4, v53, 3, v52
	v_fmamk_f32 v21, v5, 0x3f5db3d7, v7
	v_fmac_f32_e32 v7, 0xbf5db3d7, v5
	ds_store_2addr_b64 v56, v[12:13], v[8:9] offset0:77 offset1:154
	ds_store_2addr_b64 v56, v[10:11], v[14:15] offset1:33
	ds_store_2addr_b64 v28, v[20:21], v[6:7] offset0:77 offset1:154
	s_and_saveexec_b32 s1, s0
	s_cbranch_execz .LBB0_21
; %bb.20:
	v_dual_mul_f32 v5, v17, v2 :: v_dual_mul_f32 v6, v19, v49
	v_dual_mul_f32 v7, v17, v3 :: v_dual_mul_f32 v8, v19, v50
	s_delay_alu instid0(VALU_DEP_2) | instskip(NEXT) | instid1(VALU_DEP_3)
	v_fma_f32 v3, v16, v3, -v5
	v_fma_f32 v5, v18, v50, -v6
	s_delay_alu instid0(VALU_DEP_3) | instskip(NEXT) | instid1(VALU_DEP_3)
	v_dual_fmac_f32 v7, v16, v2 :: v_dual_fmac_f32 v8, v18, v49
	v_add_f32_e32 v10, v1, v3
	s_delay_alu instid0(VALU_DEP_3) | instskip(NEXT) | instid1(VALU_DEP_3)
	v_add_f32_e32 v2, v3, v5
	v_sub_f32_e32 v9, v7, v8
	v_dual_add_f32 v6, v7, v8 :: v_dual_add_f32 v7, v0, v7
	s_delay_alu instid0(VALU_DEP_3) | instskip(SKIP_2) | instid1(VALU_DEP_4)
	v_fma_f32 v1, -0.5, v2, v1
	v_sub_f32_e32 v11, v3, v5
	v_add_f32_e32 v3, v10, v5
	v_fma_f32 v0, -0.5, v6, v0
	v_add_f32_e32 v2, v7, v8
	v_fmamk_f32 v6, v9, 0xbf5db3d7, v1
	v_fmac_f32_e32 v1, 0x3f5db3d7, v9
	s_delay_alu instid0(VALU_DEP_4)
	v_fmamk_f32 v5, v11, 0x3f5db3d7, v0
	v_fmac_f32_e32 v0, 0xbf5db3d7, v11
	ds_store_2addr_b64 v4, v[2:3], v[0:1] offset0:66 offset1:143
	ds_store_b64 v4, v[5:6] offset:1760
.LBB0_21:
	s_wait_alu 0xfffe
	s_or_b32 exec_lo, exec_lo, s1
	global_wb scope:SCOPE_SE
	s_wait_dscnt 0x0
	s_barrier_signal -1
	s_barrier_wait -1
	global_inv scope:SCOPE_SE
	s_and_b32 exec_lo, exec_lo, vcc_lo
	s_cbranch_execz .LBB0_23
; %bb.22:
	s_clause 0xa
	global_load_b64 v[21:22], v52, s[12:13]
	global_load_b64 v[23:24], v52, s[12:13] offset:168
	global_load_b64 v[25:26], v52, s[12:13] offset:336
	;; [unrolled: 1-line block ×10, first 2 shown]
	v_mad_co_u64_u32 v[45:46], null, s6, v44, 0
	ds_load_b64 v[47:48], v56
	ds_load_2addr_b64 v[0:3], v4 offset0:21 offset1:42
	v_mad_co_u64_u32 v[49:50], null, s4, v51, 0
	ds_load_2addr_b64 v[5:8], v4 offset0:63 offset1:84
	ds_load_2addr_b64 v[9:12], v4 offset0:105 offset1:126
	s_mov_b32 s0, 0x4046ed29
	v_mov_b32_e32 v13, v46
	s_mov_b32 s1, 0x3f71bb4a
	s_mul_u64 s[2:3], s[4:5], 0xa8
	s_delay_alu instid0(VALU_DEP_1)
	v_mad_co_u64_u32 v[43:44], null, s7, v44, v[13:14]
	v_mov_b32_e32 v44, v50
	ds_load_2addr_b64 v[13:16], v4 offset0:147 offset1:168
	ds_load_2addr_b64 v[17:20], v4 offset0:189 offset1:210
	v_mad_co_u64_u32 v[50:51], null, s5, v51, v[44:45]
	v_mov_b32_e32 v46, v43
	s_wait_loadcnt_dscnt 0xa05
	v_mul_f32_e32 v4, v48, v22
	s_wait_loadcnt_dscnt 0x904
	v_dual_mul_f32 v22, v47, v22 :: v_dual_mul_f32 v43, v1, v24
	s_wait_loadcnt_dscnt 0x703
	v_mul_f32_e32 v51, v6, v28
	v_mul_f32_e32 v24, v0, v24
	;; [unrolled: 1-line block ×3, first 2 shown]
	v_dual_mul_f32 v26, v2, v26 :: v_dual_fmac_f32 v43, v0, v23
	v_mul_f32_e32 v28, v5, v28
	s_wait_loadcnt_dscnt 0x100
	v_dual_mul_f32 v52, v8, v30 :: v_dual_mul_f32 v57, v18, v40
	v_dual_mul_f32 v53, v10, v32 :: v_dual_mul_f32 v30, v7, v30
	v_mul_f32_e32 v32, v9, v32
	v_fmac_f32_e32 v4, v47, v21
	v_fma_f32 v21, v21, v48, -v22
	s_delay_alu instid0(VALU_DEP_4)
	v_fmac_f32_e32 v53, v9, v31
	v_dual_mul_f32 v55, v14, v36 :: v_dual_mul_f32 v54, v12, v34
	v_dual_mul_f32 v34, v11, v34 :: v_dual_fmac_f32 v57, v17, v39
	v_fmac_f32_e32 v51, v5, v27
	v_fma_f32 v22, v23, v1, -v24
	v_mul_f32_e32 v36, v13, v36
	v_fmac_f32_e32 v44, v2, v25
	v_fma_f32 v23, v25, v3, -v26
	v_mul_f32_e32 v56, v16, v38
	v_mul_f32_e32 v38, v15, v38
	v_fma_f32 v24, v27, v6, -v28
	v_mul_f32_e32 v40, v17, v40
	s_wait_loadcnt 0x0
	v_mul_f32_e32 v58, v20, v42
	v_fmac_f32_e32 v52, v7, v29
	v_fma_f32 v25, v29, v8, -v30
	v_mul_f32_e32 v42, v19, v42
	v_fma_f32 v26, v31, v10, -v32
	v_cvt_f64_f32_e32 v[0:1], v4
	v_cvt_f64_f32_e32 v[2:3], v21
	v_fma_f32 v27, v33, v12, -v34
	v_dual_fmac_f32 v55, v13, v35 :: v_dual_fmac_f32 v54, v11, v33
	v_cvt_f64_f32_e32 v[4:5], v43
	v_cvt_f64_f32_e32 v[6:7], v22
	v_fma_f32 v30, v35, v14, -v36
	v_cvt_f64_f32_e32 v[8:9], v44
	v_cvt_f64_f32_e32 v[10:11], v23
	v_fmac_f32_e32 v56, v15, v37
	v_fma_f32 v34, v37, v16, -v38
	v_cvt_f64_f32_e32 v[12:13], v51
	v_cvt_f64_f32_e32 v[14:15], v24
	v_fma_f32 v38, v39, v18, -v40
	v_fmac_f32_e32 v58, v19, v41
	v_cvt_f64_f32_e32 v[16:17], v52
	v_cvt_f64_f32_e32 v[18:19], v25
	v_fma_f32 v42, v41, v20, -v42
	v_cvt_f64_f32_e32 v[20:21], v53
	v_cvt_f64_f32_e32 v[22:23], v26
	;; [unrolled: 1-line block ×12, first 2 shown]
	v_lshlrev_b64_e32 v[44:45], 3, v[45:46]
	v_lshlrev_b64_e32 v[46:47], 3, v[49:50]
	s_delay_alu instid0(VALU_DEP_2)
	v_add_co_u32 v44, vcc_lo, s8, v44
	s_wait_alu 0xfffe
	v_mul_f64_e32 v[0:1], s[0:1], v[0:1]
	v_mul_f64_e32 v[2:3], s[0:1], v[2:3]
	v_add_co_ci_u32_e32 v45, vcc_lo, s9, v45, vcc_lo
	v_mul_f64_e32 v[4:5], s[0:1], v[4:5]
	v_mul_f64_e32 v[6:7], s[0:1], v[6:7]
	v_add_co_u32 v44, vcc_lo, v44, v46
	v_mul_f64_e32 v[8:9], s[0:1], v[8:9]
	v_mul_f64_e32 v[10:11], s[0:1], v[10:11]
	s_wait_alu 0xfffd
	v_add_co_ci_u32_e32 v45, vcc_lo, v45, v47, vcc_lo
	v_mul_f64_e32 v[12:13], s[0:1], v[12:13]
	v_mul_f64_e32 v[14:15], s[0:1], v[14:15]
	v_add_co_u32 v46, vcc_lo, v44, s2
	v_mul_f64_e32 v[16:17], s[0:1], v[16:17]
	v_mul_f64_e32 v[18:19], s[0:1], v[18:19]
	;; [unrolled: 1-line block ×14, first 2 shown]
	s_wait_alu 0xfffd
	v_add_co_ci_u32_e32 v47, vcc_lo, s3, v45, vcc_lo
	v_add_co_u32 v48, vcc_lo, v46, s2
	s_wait_alu 0xfffd
	s_delay_alu instid0(VALU_DEP_2) | instskip(NEXT) | instid1(VALU_DEP_2)
	v_add_co_ci_u32_e32 v49, vcc_lo, s3, v47, vcc_lo
	v_add_co_u32 v50, vcc_lo, v48, s2
	v_cvt_f32_f64_e32 v0, v[0:1]
	v_cvt_f32_f64_e32 v1, v[2:3]
	s_wait_alu 0xfffd
	v_add_co_ci_u32_e32 v51, vcc_lo, s3, v49, vcc_lo
	v_cvt_f32_f64_e32 v2, v[4:5]
	v_cvt_f32_f64_e32 v3, v[6:7]
	v_add_co_u32 v52, vcc_lo, v50, s2
	v_cvt_f32_f64_e32 v4, v[8:9]
	v_cvt_f32_f64_e32 v5, v[10:11]
	s_wait_alu 0xfffd
	v_add_co_ci_u32_e32 v53, vcc_lo, s3, v51, vcc_lo
	v_cvt_f32_f64_e32 v6, v[12:13]
	v_cvt_f32_f64_e32 v7, v[14:15]
	;; [unrolled: 1-line block ×16, first 2 shown]
	v_add_co_u32 v22, vcc_lo, v52, s2
	s_wait_alu 0xfffd
	v_add_co_ci_u32_e32 v23, vcc_lo, s3, v53, vcc_lo
	s_delay_alu instid0(VALU_DEP_2) | instskip(SKIP_1) | instid1(VALU_DEP_2)
	v_add_co_u32 v24, vcc_lo, v22, s2
	s_wait_alu 0xfffd
	v_add_co_ci_u32_e32 v25, vcc_lo, s3, v23, vcc_lo
	s_delay_alu instid0(VALU_DEP_2) | instskip(SKIP_1) | instid1(VALU_DEP_2)
	;; [unrolled: 4-line block ×5, first 2 shown]
	v_add_co_u32 v32, vcc_lo, v30, s2
	s_wait_alu 0xfffd
	v_add_co_ci_u32_e32 v33, vcc_lo, s3, v31, vcc_lo
	s_clause 0x4
	global_store_b64 v[44:45], v[0:1], off
	global_store_b64 v[46:47], v[2:3], off
	;; [unrolled: 1-line block ×11, first 2 shown]
.LBB0_23:
	s_nop 0
	s_sendmsg sendmsg(MSG_DEALLOC_VGPRS)
	s_endpgm
	.section	.rodata,"a",@progbits
	.p2align	6, 0x0
	.amdhsa_kernel bluestein_single_fwd_len231_dim1_sp_op_CI_CI
		.amdhsa_group_segment_fixed_size 12936
		.amdhsa_private_segment_fixed_size 0
		.amdhsa_kernarg_size 104
		.amdhsa_user_sgpr_count 2
		.amdhsa_user_sgpr_dispatch_ptr 0
		.amdhsa_user_sgpr_queue_ptr 0
		.amdhsa_user_sgpr_kernarg_segment_ptr 1
		.amdhsa_user_sgpr_dispatch_id 0
		.amdhsa_user_sgpr_private_segment_size 0
		.amdhsa_wavefront_size32 1
		.amdhsa_uses_dynamic_stack 0
		.amdhsa_enable_private_segment 0
		.amdhsa_system_sgpr_workgroup_id_x 1
		.amdhsa_system_sgpr_workgroup_id_y 0
		.amdhsa_system_sgpr_workgroup_id_z 0
		.amdhsa_system_sgpr_workgroup_info 0
		.amdhsa_system_vgpr_workitem_id 0
		.amdhsa_next_free_vgpr 132
		.amdhsa_next_free_sgpr 14
		.amdhsa_reserve_vcc 1
		.amdhsa_float_round_mode_32 0
		.amdhsa_float_round_mode_16_64 0
		.amdhsa_float_denorm_mode_32 3
		.amdhsa_float_denorm_mode_16_64 3
		.amdhsa_fp16_overflow 0
		.amdhsa_workgroup_processor_mode 1
		.amdhsa_memory_ordered 1
		.amdhsa_forward_progress 0
		.amdhsa_round_robin_scheduling 0
		.amdhsa_exception_fp_ieee_invalid_op 0
		.amdhsa_exception_fp_denorm_src 0
		.amdhsa_exception_fp_ieee_div_zero 0
		.amdhsa_exception_fp_ieee_overflow 0
		.amdhsa_exception_fp_ieee_underflow 0
		.amdhsa_exception_fp_ieee_inexact 0
		.amdhsa_exception_int_div_zero 0
	.end_amdhsa_kernel
	.text
.Lfunc_end0:
	.size	bluestein_single_fwd_len231_dim1_sp_op_CI_CI, .Lfunc_end0-bluestein_single_fwd_len231_dim1_sp_op_CI_CI
                                        ; -- End function
	.section	.AMDGPU.csdata,"",@progbits
; Kernel info:
; codeLenInByte = 10620
; NumSgprs: 16
; NumVgprs: 132
; ScratchSize: 0
; MemoryBound: 0
; FloatMode: 240
; IeeeMode: 1
; LDSByteSize: 12936 bytes/workgroup (compile time only)
; SGPRBlocks: 1
; VGPRBlocks: 16
; NumSGPRsForWavesPerEU: 16
; NumVGPRsForWavesPerEU: 132
; Occupancy: 10
; WaveLimiterHint : 1
; COMPUTE_PGM_RSRC2:SCRATCH_EN: 0
; COMPUTE_PGM_RSRC2:USER_SGPR: 2
; COMPUTE_PGM_RSRC2:TRAP_HANDLER: 0
; COMPUTE_PGM_RSRC2:TGID_X_EN: 1
; COMPUTE_PGM_RSRC2:TGID_Y_EN: 0
; COMPUTE_PGM_RSRC2:TGID_Z_EN: 0
; COMPUTE_PGM_RSRC2:TIDIG_COMP_CNT: 0
	.text
	.p2alignl 7, 3214868480
	.fill 96, 4, 3214868480
	.type	__hip_cuid_4465abda79730327,@object ; @__hip_cuid_4465abda79730327
	.section	.bss,"aw",@nobits
	.globl	__hip_cuid_4465abda79730327
__hip_cuid_4465abda79730327:
	.byte	0                               ; 0x0
	.size	__hip_cuid_4465abda79730327, 1

	.ident	"AMD clang version 19.0.0git (https://github.com/RadeonOpenCompute/llvm-project roc-6.4.0 25133 c7fe45cf4b819c5991fe208aaa96edf142730f1d)"
	.section	".note.GNU-stack","",@progbits
	.addrsig
	.addrsig_sym __hip_cuid_4465abda79730327
	.amdgpu_metadata
---
amdhsa.kernels:
  - .args:
      - .actual_access:  read_only
        .address_space:  global
        .offset:         0
        .size:           8
        .value_kind:     global_buffer
      - .actual_access:  read_only
        .address_space:  global
        .offset:         8
        .size:           8
        .value_kind:     global_buffer
      - .actual_access:  read_only
        .address_space:  global
        .offset:         16
        .size:           8
        .value_kind:     global_buffer
      - .actual_access:  read_only
        .address_space:  global
        .offset:         24
        .size:           8
        .value_kind:     global_buffer
      - .actual_access:  read_only
        .address_space:  global
        .offset:         32
        .size:           8
        .value_kind:     global_buffer
      - .offset:         40
        .size:           8
        .value_kind:     by_value
      - .address_space:  global
        .offset:         48
        .size:           8
        .value_kind:     global_buffer
      - .address_space:  global
        .offset:         56
        .size:           8
        .value_kind:     global_buffer
      - .address_space:  global
        .offset:         64
        .size:           8
        .value_kind:     global_buffer
      - .address_space:  global
        .offset:         72
        .size:           8
        .value_kind:     global_buffer
      - .offset:         80
        .size:           4
        .value_kind:     by_value
      - .address_space:  global
        .offset:         88
        .size:           8
        .value_kind:     global_buffer
      - .address_space:  global
        .offset:         96
        .size:           8
        .value_kind:     global_buffer
    .group_segment_fixed_size: 12936
    .kernarg_segment_align: 8
    .kernarg_segment_size: 104
    .language:       OpenCL C
    .language_version:
      - 2
      - 0
    .max_flat_workgroup_size: 231
    .name:           bluestein_single_fwd_len231_dim1_sp_op_CI_CI
    .private_segment_fixed_size: 0
    .sgpr_count:     16
    .sgpr_spill_count: 0
    .symbol:         bluestein_single_fwd_len231_dim1_sp_op_CI_CI.kd
    .uniform_work_group_size: 1
    .uses_dynamic_stack: false
    .vgpr_count:     132
    .vgpr_spill_count: 0
    .wavefront_size: 32
    .workgroup_processor_mode: 1
amdhsa.target:   amdgcn-amd-amdhsa--gfx1201
amdhsa.version:
  - 1
  - 2
...

	.end_amdgpu_metadata
